;; amdgpu-corpus repo=ROCm/rocFFT kind=compiled arch=gfx1030 opt=O3
	.text
	.amdgcn_target "amdgcn-amd-amdhsa--gfx1030"
	.amdhsa_code_object_version 6
	.protected	bluestein_single_back_len80_dim1_half_op_CI_CI ; -- Begin function bluestein_single_back_len80_dim1_half_op_CI_CI
	.globl	bluestein_single_back_len80_dim1_half_op_CI_CI
	.p2align	8
	.type	bluestein_single_back_len80_dim1_half_op_CI_CI,@function
bluestein_single_back_len80_dim1_half_op_CI_CI: ; @bluestein_single_back_len80_dim1_half_op_CI_CI
; %bb.0:
	s_load_dwordx4 s[12:15], s[4:5], 0x28
	v_mul_u32_u24_e32 v1, 0x199a, v0
	v_lshrrev_b32_e32 v1, 16, v1
	v_mad_u64_u32 v[9:10], null, s6, 6, v[1:2]
	v_mov_b32_e32 v10, 0
                                        ; kill: def $vgpr2 killed $sgpr0 killed $exec
	s_mov_b32 s0, exec_lo
	s_waitcnt lgkmcnt(0)
	v_cmpx_gt_u64_e64 s[12:13], v[9:10]
	s_cbranch_execz .LBB0_15
; %bb.1:
	s_clause 0x1
	s_load_dwordx4 s[8:11], s[4:5], 0x18
	s_load_dwordx2 s[12:13], s[4:5], 0x0
	v_mul_lo_u16 v1, v1, 10
	s_load_dwordx2 s[6:7], s[4:5], 0x38
	v_sub_nc_u16 v29, v0, v1
	v_and_b32_e32 v25, 0xffff, v29
	v_or_b32_e32 v20, 48, v25
	v_or_b32_e32 v19, 64, v25
	;; [unrolled: 1-line block ×3, first 2 shown]
	s_waitcnt lgkmcnt(0)
	s_load_dwordx4 s[0:3], s[8:9], 0x0
	v_or_b32_e32 v21, 32, v25
	v_lshlrev_b32_e32 v31, 2, v25
	s_waitcnt lgkmcnt(0)
	v_mad_u64_u32 v[0:1], null, s2, v9, 0
	v_mad_u64_u32 v[2:3], null, s0, v25, 0
	;; [unrolled: 1-line block ×6, first 2 shown]
	v_mov_b32_e32 v8, v11
	v_mov_b32_e32 v11, v13
	v_mad_u64_u32 v[13:14], null, s3, v9, v[1:2]
	v_mad_u64_u32 v[14:15], null, s1, v25, v[3:4]
	;; [unrolled: 1-line block ×4, first 2 shown]
	v_mov_b32_e32 v1, v13
	v_mad_u64_u32 v[17:18], null, s1, v20, v[8:9]
	v_mov_b32_e32 v3, v14
	v_mov_b32_e32 v5, v15
	v_lshlrev_b64 v[0:1], 2, v[0:1]
	v_mad_u64_u32 v[26:27], null, s1, v19, v[11:12]
	v_lshlrev_b64 v[2:3], 2, v[2:3]
	v_mov_b32_e32 v7, v16
	v_lshlrev_b64 v[4:5], 2, v[4:5]
	v_add_co_u32 v0, vcc_lo, s14, v0
	v_add_co_ci_u32_e32 v1, vcc_lo, s15, v1, vcc_lo
	v_mov_b32_e32 v11, v17
	v_lshlrev_b64 v[6:7], 2, v[6:7]
	v_add_co_u32 v2, vcc_lo, v0, v2
	v_mov_b32_e32 v13, v26
	v_add_co_ci_u32_e32 v3, vcc_lo, v1, v3, vcc_lo
	v_lshlrev_b64 v[10:11], 2, v[10:11]
	v_add_co_u32 v4, vcc_lo, v0, v4
	v_add_co_ci_u32_e32 v5, vcc_lo, v1, v5, vcc_lo
	v_lshlrev_b64 v[12:13], 2, v[12:13]
	v_add_co_u32 v6, vcc_lo, v0, v6
	v_add_co_ci_u32_e32 v7, vcc_lo, v1, v7, vcc_lo
	v_add_co_u32 v10, vcc_lo, v0, v10
	v_add_co_ci_u32_e32 v11, vcc_lo, v1, v11, vcc_lo
	s_clause 0x1
	global_load_dword v28, v31, s[12:13]
	global_load_dword v27, v31, s[12:13] offset:64
	s_clause 0x1
	global_load_dword v8, v[2:3], off
	global_load_dword v4, v[4:5], off
	v_add_co_u32 v2, vcc_lo, v0, v12
	v_add_co_ci_u32_e32 v3, vcc_lo, v1, v13, vcc_lo
	global_load_dword v5, v[6:7], off
	global_load_dword v26, v31, s[12:13] offset:128
	global_load_dword v7, v[10:11], off
	global_load_dword v24, v31, s[12:13] offset:192
	global_load_dword v2, v[2:3], off
	global_load_dword v22, v31, s[12:13] offset:256
	v_mul_hi_u32 v3, 0xaaaaaaab, v9
	v_add_co_u32 v6, s2, v25, 10
	v_cmp_gt_u16_e32 vcc_lo, 6, v29
	v_add_co_ci_u32_e64 v10, null, 0, 0, s2
	s_load_dwordx4 s[8:11], s[10:11], 0x0
	v_lshrrev_b32_e32 v3, 2, v3
	v_mul_lo_u32 v3, v3, 6
	v_sub_nc_u32_e32 v3, v9, v3
	v_mul_u32_u24_e32 v30, 0x50, v3
	v_or_b32_e32 v3, v30, v25
	v_lshl_add_u32 v18, v30, 2, v31
	v_lshlrev_b32_e32 v29, 2, v3
	s_waitcnt vmcnt(7)
	v_lshrrev_b32_e32 v3, 16, v8
	v_mul_f16_sdwa v10, v28, v8 dst_sel:DWORD dst_unused:UNUSED_PAD src0_sel:WORD_1 src1_sel:DWORD
	s_waitcnt vmcnt(6)
	v_lshrrev_b32_e32 v11, 16, v4
	v_mul_f16_sdwa v12, v27, v4 dst_sel:DWORD dst_unused:UNUSED_PAD src0_sel:WORD_1 src1_sel:DWORD
	s_waitcnt vmcnt(5)
	v_lshrrev_b32_e32 v13, 16, v5
	s_waitcnt vmcnt(4)
	v_mul_f16_sdwa v14, v26, v5 dst_sel:DWORD dst_unused:UNUSED_PAD src0_sel:WORD_1 src1_sel:DWORD
	s_waitcnt vmcnt(3)
	v_lshrrev_b32_e32 v15, 16, v7
	s_waitcnt vmcnt(2)
	v_mul_f16_sdwa v16, v24, v7 dst_sel:DWORD dst_unused:UNUSED_PAD src0_sel:WORD_1 src1_sel:DWORD
	s_waitcnt vmcnt(1)
	v_lshrrev_b32_e32 v17, 16, v2
	v_mul_f16_sdwa v33, v28, v3 dst_sel:DWORD dst_unused:UNUSED_PAD src0_sel:WORD_1 src1_sel:DWORD
	v_fma_f16 v3, v28, v3, -v10
	v_mul_f16_sdwa v10, v27, v11 dst_sel:DWORD dst_unused:UNUSED_PAD src0_sel:WORD_1 src1_sel:DWORD
	v_fma_f16 v11, v27, v11, -v12
	v_mul_f16_sdwa v12, v26, v13 dst_sel:DWORD dst_unused:UNUSED_PAD src0_sel:WORD_1 src1_sel:DWORD
	s_waitcnt vmcnt(0)
	v_mul_f16_sdwa v32, v22, v2 dst_sel:DWORD dst_unused:UNUSED_PAD src0_sel:WORD_1 src1_sel:DWORD
	v_fma_f16 v13, v26, v13, -v14
	v_mul_f16_sdwa v14, v24, v15 dst_sel:DWORD dst_unused:UNUSED_PAD src0_sel:WORD_1 src1_sel:DWORD
	v_fma_f16 v15, v24, v15, -v16
	v_mul_f16_sdwa v16, v22, v17 dst_sel:DWORD dst_unused:UNUSED_PAD src0_sel:WORD_1 src1_sel:DWORD
	v_fmac_f16_e32 v33, v28, v8
	v_fmac_f16_e32 v10, v27, v4
	;; [unrolled: 1-line block ×3, first 2 shown]
	v_fma_f16 v17, v22, v17, -v32
	v_fmac_f16_e32 v14, v24, v7
	v_fmac_f16_e32 v16, v22, v2
	v_add_co_u32 v7, s2, s12, v31
	v_pack_b32_f16 v2, v33, v3
	v_add_co_ci_u32_e64 v8, null, s13, 0, s2
	v_pack_b32_f16 v3, v10, v11
	v_pack_b32_f16 v4, v12, v13
	;; [unrolled: 1-line block ×4, first 2 shown]
	ds_write_b32 v29, v2
	ds_write2_b32 v18, v3, v4 offset0:16 offset1:32
	ds_write2_b32 v18, v5, v10 offset0:48 offset1:64
	s_and_saveexec_b32 s2, vcc_lo
	s_cbranch_execz .LBB0_3
; %bb.2:
	v_mad_u64_u32 v[2:3], null, s0, v6, 0
	s_lshl_b64 s[14:15], s[0:1], 6
	s_clause 0x1
	global_load_dword v10, v[7:8], off offset:40
	global_load_dword v11, v[7:8], off offset:104
	v_mad_u64_u32 v[3:4], null, s1, v6, v[3:4]
	v_lshlrev_b64 v[2:3], 2, v[2:3]
	v_add_co_u32 v0, s0, v0, v2
	v_add_co_ci_u32_e64 v1, s0, v1, v3, s0
	v_add_co_u32 v2, s0, v0, s14
	v_add_co_ci_u32_e64 v3, s0, s15, v1, s0
	s_clause 0x1
	global_load_dword v12, v[0:1], off
	global_load_dword v13, v[2:3], off
	v_add_co_u32 v0, s0, v2, s14
	v_add_co_ci_u32_e64 v1, s0, s15, v3, s0
	v_add_co_u32 v2, s0, v0, s14
	v_add_co_ci_u32_e64 v3, s0, s15, v1, s0
	;; [unrolled: 2-line block ×3, first 2 shown]
	global_load_dword v0, v[0:1], off
	global_load_dword v1, v[7:8], off offset:168
	s_clause 0x1
	global_load_dword v2, v[2:3], off
	global_load_dword v3, v[4:5], off
	s_clause 0x1
	global_load_dword v4, v[7:8], off offset:232
	global_load_dword v5, v[7:8], off offset:296
	s_waitcnt vmcnt(7)
	v_lshrrev_b32_e32 v14, 16, v12
	v_mul_f16_sdwa v15, v10, v12 dst_sel:DWORD dst_unused:UNUSED_PAD src0_sel:WORD_1 src1_sel:DWORD
	s_waitcnt vmcnt(6)
	v_lshrrev_b32_e32 v16, 16, v13
	v_mul_f16_sdwa v31, v11, v13 dst_sel:DWORD dst_unused:UNUSED_PAD src0_sel:WORD_1 src1_sel:DWORD
	v_mul_f16_sdwa v17, v10, v14 dst_sel:DWORD dst_unused:UNUSED_PAD src0_sel:WORD_1 src1_sel:DWORD
	v_fma_f16 v14, v10, v14, -v15
	v_mul_f16_sdwa v15, v11, v16 dst_sel:DWORD dst_unused:UNUSED_PAD src0_sel:WORD_1 src1_sel:DWORD
	v_fmac_f16_e32 v17, v10, v12
	v_fma_f16 v10, v11, v16, -v31
	s_waitcnt vmcnt(5)
	v_lshrrev_b32_e32 v12, 16, v0
	s_waitcnt vmcnt(4)
	v_mul_f16_sdwa v16, v1, v0 dst_sel:DWORD dst_unused:UNUSED_PAD src0_sel:WORD_1 src1_sel:DWORD
	v_fmac_f16_e32 v15, v11, v13
	s_waitcnt vmcnt(3)
	v_lshrrev_b32_e32 v11, 16, v2
	s_waitcnt vmcnt(2)
	v_lshrrev_b32_e32 v13, 16, v3
	v_mul_f16_sdwa v31, v1, v12 dst_sel:DWORD dst_unused:UNUSED_PAD src0_sel:WORD_1 src1_sel:DWORD
	v_fma_f16 v12, v1, v12, -v16
	s_waitcnt vmcnt(1)
	v_mul_f16_sdwa v16, v4, v2 dst_sel:DWORD dst_unused:UNUSED_PAD src0_sel:WORD_1 src1_sel:DWORD
	v_mul_f16_sdwa v32, v4, v11 dst_sel:DWORD dst_unused:UNUSED_PAD src0_sel:WORD_1 src1_sel:DWORD
	s_waitcnt vmcnt(0)
	v_mul_f16_sdwa v33, v5, v13 dst_sel:DWORD dst_unused:UNUSED_PAD src0_sel:WORD_1 src1_sel:DWORD
	v_mul_f16_sdwa v34, v5, v3 dst_sel:DWORD dst_unused:UNUSED_PAD src0_sel:WORD_1 src1_sel:DWORD
	v_fmac_f16_e32 v31, v1, v0
	v_fma_f16 v0, v4, v11, -v16
	v_fmac_f16_e32 v32, v4, v2
	v_fmac_f16_e32 v33, v5, v3
	v_fma_f16 v1, v5, v13, -v34
	v_pack_b32_f16 v2, v17, v14
	v_pack_b32_f16 v3, v15, v10
	;; [unrolled: 1-line block ×5, first 2 shown]
	ds_write2_b32 v18, v2, v3 offset0:10 offset1:26
	ds_write2_b32 v18, v4, v0 offset0:42 offset1:58
	ds_write_b32 v18, v1 offset:296
.LBB0_3:
	s_or_b32 exec_lo, exec_lo, s2
	s_waitcnt lgkmcnt(0)
	s_barrier
	buffer_gl0_inv
	ds_read_b32 v16, v29
	ds_read2_b32 v[12:13], v18 offset0:16 offset1:32
	ds_read2_b32 v[4:5], v18 offset0:48 offset1:64
	s_load_dwordx2 s[2:3], s[4:5], 0x8
                                        ; implicit-def: $vgpr14
                                        ; implicit-def: $vgpr1
                                        ; implicit-def: $vgpr3
	s_and_saveexec_b32 s0, vcc_lo
	s_cbranch_execz .LBB0_5
; %bb.4:
	ds_read2_b32 v[2:3], v18 offset0:10 offset1:26
	ds_read2_b32 v[0:1], v18 offset0:42 offset1:58
	ds_read_b32 v14, v18 offset:296
.LBB0_5:
	s_or_b32 exec_lo, exec_lo, s0
	s_waitcnt lgkmcnt(0)
	v_pk_add_f16 v33, v0, v1 neg_lo:[0,1] neg_hi:[0,1]
	v_pk_add_f16 v10, v1, v0
	v_pk_add_f16 v11, v3, v14 neg_lo:[0,1] neg_hi:[0,1]
	v_pk_add_f16 v15, v3, v0 neg_lo:[0,1] neg_hi:[0,1]
	;; [unrolled: 1-line block ×3, first 2 shown]
	v_pk_mul_f16 v35, 0x3b9c, v33 op_sel_hi:[0,1]
	v_pk_mul_f16 v39, 0x38b4, v33 op_sel_hi:[0,1]
	v_mul_lo_u16 v33, v25, 5
	v_pk_fma_f16 v10, v10, 0.5, v2 op_sel_hi:[1,0,1] neg_lo:[1,0,0] neg_hi:[1,0,0]
	v_pk_mul_f16 v31, 0x3b9c, v11 op_sel_hi:[0,1]
	v_pk_add_f16 v37, v0, v3 neg_lo:[0,1] neg_hi:[0,1]
	v_pk_add_f16 v38, v1, v14 neg_lo:[0,1] neg_hi:[0,1]
	v_and_b32_e32 v33, 0xffff, v33
	v_pk_add_f16 v42, v13, v4
	v_pk_add_f16 v43, v12, v5 neg_lo:[0,1] neg_hi:[0,1]
	v_pk_add_f16 v15, v17, v15
	v_pk_add_f16 v17, v10, v31 op_sel:[0,1] op_sel_hi:[1,0] neg_lo:[0,1] neg_hi:[0,1]
	v_pk_add_f16 v36, v31, v10 op_sel:[1,0] op_sel_hi:[0,1]
	v_pk_add_f16 v10, v38, v37
	v_add_lshl_u32 v38, v30, v33, 2
	v_pk_add_f16 v33, v13, v4 neg_lo:[0,1] neg_hi:[0,1]
	v_pk_fma_f16 v42, v42, 0.5, v16 op_sel_hi:[1,0,1] neg_lo:[1,0,0] neg_hi:[1,0,0]
	v_pk_mul_f16 v44, 0x3b9c, v43 op_sel_hi:[0,1]
	v_pk_add_f16 v45, v12, v5
	v_pk_add_f16 v32, v14, v3
	;; [unrolled: 1-line block ×3, first 2 shown]
	v_pk_mul_f16 v46, 0x38b4, v33 op_sel_hi:[0,1]
	v_pk_add_f16 v48, v42, v44 op_sel:[0,1] op_sel_hi:[1,0]
	v_pk_fma_f16 v16, v45, 0.5, v16 op_sel_hi:[1,0,1] neg_lo:[1,0,0] neg_hi:[1,0,0]
	v_pk_mul_f16 v33, 0x3b9c, v33 op_sel_hi:[0,1]
	v_pk_fma_f16 v32, v32, 0.5, v2 op_sel_hi:[1,0,1] neg_lo:[1,0,0] neg_hi:[1,0,0]
	v_pk_add_f16 v42, v42, v44 op_sel:[0,1] op_sel_hi:[1,0] neg_lo:[0,1] neg_hi:[0,1]
	v_pk_add_f16 v44, v48, v46 op_sel:[0,1] op_sel_hi:[1,0]
	v_pk_mul_f16 v43, 0x38b4, v43 op_sel_hi:[0,1]
	v_pk_add_f16 v48, v16, v33 op_sel:[0,1] op_sel_hi:[1,0] neg_lo:[0,1] neg_hi:[0,1]
	v_pk_add_f16 v16, v16, v33 op_sel:[0,1] op_sel_hi:[1,0]
	v_pk_add_f16 v34, v35, v32 op_sel:[1,0] op_sel_hi:[0,1]
	v_pk_mul_f16 v40, 0x38b4, v11 op_sel_hi:[0,1]
	v_pk_add_f16 v37, v32, v35 op_sel:[0,1] op_sel_hi:[1,0] neg_lo:[0,1] neg_hi:[0,1]
	v_pk_add_f16 v41, v41, v13
	v_pk_add_f16 v47, v12, v13 neg_lo:[0,1] neg_hi:[0,1]
	v_pk_add_f16 v45, v5, v4 neg_lo:[0,1] neg_hi:[0,1]
	v_pk_add_f16 v33, v42, v46 op_sel:[0,1] op_sel_hi:[1,0] neg_lo:[0,1] neg_hi:[0,1]
	v_pk_add_f16 v12, v13, v12 neg_lo:[0,1] neg_hi:[0,1]
	v_pk_add_f16 v13, v4, v5 neg_lo:[0,1] neg_hi:[0,1]
	v_pk_add_f16 v42, v48, v43 op_sel:[0,1] op_sel_hi:[1,0]
	v_pk_add_f16 v16, v16, v43 op_sel:[0,1] op_sel_hi:[1,0] neg_lo:[0,1] neg_hi:[0,1]
	v_pk_mul_f16 v15, 0x34f2, v15 op_sel_hi:[0,1]
	v_sub_f16_sdwa v11, v17, v39 dst_sel:DWORD dst_unused:UNUSED_PAD src0_sel:DWORD src1_sel:WORD_1
	v_add_f16_sdwa v31, v39, v36 dst_sel:DWORD dst_unused:UNUSED_PAD src0_sel:DWORD src1_sel:WORD_1
	v_pk_mul_f16 v35, 0x34f2, v10 op_sel_hi:[0,1]
	v_sub_f16_sdwa v10, v34, v40 dst_sel:DWORD dst_unused:UNUSED_PAD src0_sel:DWORD src1_sel:WORD_1
	v_add_f16_sdwa v32, v40, v37 dst_sel:DWORD dst_unused:UNUSED_PAD src0_sel:DWORD src1_sel:WORD_1
	v_pk_add_f16 v4, v41, v4
	v_pk_add_f16 v41, v47, v45
	v_bfi_b32 v43, 0xffff, v44, v33
	v_pk_add_f16 v12, v12, v13
	v_bfi_b32 v13, 0xffff, v42, v16
	v_bfi_b32 v16, 0xffff, v16, v42
	;; [unrolled: 1-line block ×3, first 2 shown]
	v_add_f16_e32 v11, v15, v11
	v_add_f16_sdwa v31, v15, v31 dst_sel:DWORD dst_unused:UNUSED_PAD src0_sel:WORD_1 src1_sel:DWORD
	v_add_f16_e32 v10, v35, v10
	v_add_f16_sdwa v32, v35, v32 dst_sel:DWORD dst_unused:UNUSED_PAD src0_sel:WORD_1 src1_sel:DWORD
	v_pk_add_f16 v4, v4, v5
	v_pk_fma_f16 v5, 0x34f2, v41, v43 op_sel_hi:[0,1,1]
	v_pk_fma_f16 v13, 0x34f2, v12, v13 op_sel_hi:[0,1,1]
	;; [unrolled: 1-line block ×4, first 2 shown]
	v_mul_u32_u24_e32 v33, 5, v6
	s_barrier
	buffer_gl0_inv
	ds_write2_b32 v38, v4, v5 offset1:1
	ds_write2_b32 v38, v13, v12 offset0:2 offset1:3
	ds_write_b32 v38, v16 offset:16
	s_and_saveexec_b32 s0, vcc_lo
	s_cbranch_execz .LBB0_7
; %bb.6:
	v_pk_add_f16 v2, v3, v2
	v_alignbit_b32 v3, v39, v39, 16
	v_alignbit_b32 v4, v40, v40, 16
	v_pk_add_f16 v0, v0, v2
	v_pk_add_f16 v2, v36, v3
	v_pk_add_f16 v3, v17, v3 neg_lo:[0,1] neg_hi:[0,1]
	v_pk_add_f16 v5, v37, v4
	v_pk_add_f16 v4, v34, v4 neg_lo:[0,1] neg_hi:[0,1]
	v_pk_add_f16 v0, v1, v0
	v_bfi_b32 v1, 0xffff, v2, v3
	v_add_lshl_u32 v3, v30, v33, 2
	v_bfi_b32 v2, 0xffff, v5, v4
	v_pk_add_f16 v0, v14, v0
	v_perm_b32 v4, v32, v10, 0x5040100
	v_pk_add_f16 v1, v15, v1
	v_perm_b32 v5, v31, v11, 0x5040100
	v_pk_add_f16 v2, v35, v2
	ds_write2_b32 v3, v0, v1 offset1:1
	ds_write2_b32 v3, v2, v4 offset0:2 offset1:3
	ds_write_b32 v3, v5 offset:16
.LBB0_7:
	s_or_b32 exec_lo, exec_lo, s0
	v_and_b32_e32 v1, 0xff, v6
	v_add_co_u32 v0, s1, v25, -5
	v_cmp_gt_u16_e64 s0, 5, v25
	v_add_co_ci_u32_e64 v2, null, 0, -1, s1
	v_mul_lo_u16 v3, 0xcd, v1
	v_add_nc_u16 v4, v25, 20
	v_add_nc_u16 v5, v25, 30
	v_cndmask_b32_e64 v1, v2, 0, s0
	v_cndmask_b32_e64 v0, v0, v25, s0
	v_lshrrev_b16 v14, 10, v3
	v_and_b32_e32 v3, 0xff, v4
	v_and_b32_e32 v12, 0xff, v5
	s_waitcnt lgkmcnt(0)
	v_lshlrev_b64 v[1:2], 2, v[0:1]
	v_mul_lo_u16 v13, v14, 5
	v_mul_lo_u16 v3, 0xcd, v3
	;; [unrolled: 1-line block ×3, first 2 shown]
	s_barrier
	buffer_gl0_inv
	v_add_co_u32 v1, s0, s2, v1
	v_lshrrev_b16 v15, 10, v3
	v_add_co_ci_u32_e64 v2, s0, s3, v2, s0
	v_lshrrev_b16 v17, 10, v12
	v_sub_nc_u16 v16, v6, v13
	v_mov_b32_e32 v3, 2
	v_mul_lo_u16 v6, v15, 5
	global_load_dword v34, v[1:2], off
	v_mul_lo_u16 v1, v17, 5
	v_cmp_lt_u16_e64 s0, 4, v25
	v_lshlrev_b32_sdwa v2, v3, v16 dst_sel:DWORD dst_unused:UNUSED_PAD src0_sel:DWORD src1_sel:BYTE_0
	v_sub_nc_u16 v40, v4, v6
	v_mad_u16 v14, v14, 10, v16
	v_sub_nc_u16 v41, v5, v1
	v_cndmask_b32_e64 v12, 0, 10, s0
	global_load_dword v35, v2, s[2:3]
	v_lshlrev_b32_sdwa v1, v3, v40 dst_sel:DWORD dst_unused:UNUSED_PAD src0_sel:DWORD src1_sel:BYTE_0
	v_mad_u16 v15, v15, 10, v40
	v_lshlrev_b32_sdwa v2, v3, v41 dst_sel:DWORD dst_unused:UNUSED_PAD src0_sel:DWORD src1_sel:BYTE_0
	s_clause 0x1
	global_load_dword v36, v1, s[2:3]
	global_load_dword v37, v2, s[2:3]
	ds_read_b32 v43, v29
	ds_read2_b32 v[1:2], v18 offset0:30 offset1:40
	ds_read2_b32 v[3:4], v18 offset0:10 offset1:20
	;; [unrolled: 1-line block ×3, first 2 shown]
	ds_read_b32 v44, v18 offset:280
	v_and_b32_e32 v14, 0xff, v14
	v_mad_u16 v17, v17, 10, v41
	v_and_b32_e32 v15, 0xff, v15
	v_add_nc_u32_e32 v0, v0, v12
	v_mad_u64_u32 v[12:13], null, v25, 28, s[2:3]
	v_add_lshl_u32 v40, v30, v14, 2
	v_and_b32_e32 v14, 0xff, v17
	v_add_lshl_u32 v41, v30, v15, 2
	v_add_lshl_u32 v39, v30, v0, 2
	s_waitcnt vmcnt(0) lgkmcnt(0)
	s_barrier
	buffer_gl0_inv
	s_add_u32 s0, s12, 0x140
	s_addc_u32 s1, s13, 0
	v_lshrrev_b32_e32 v0, 16, v43
	v_lshrrev_b32_e32 v42, 16, v2
	;; [unrolled: 1-line block ×8, first 2 shown]
	v_mul_f16_sdwa v50, v42, v34 dst_sel:DWORD dst_unused:UNUSED_PAD src0_sel:DWORD src1_sel:WORD_1
	v_mul_f16_sdwa v51, v2, v34 dst_sel:DWORD dst_unused:UNUSED_PAD src0_sel:DWORD src1_sel:WORD_1
	v_fma_f16 v2, v2, v34, -v50
	v_fmac_f16_e32 v51, v42, v34
	v_add_lshl_u32 v42, v30, v14, 2
	v_mul_f16_sdwa v15, v46, v35 dst_sel:DWORD dst_unused:UNUSED_PAD src0_sel:DWORD src1_sel:WORD_1
	v_mul_f16_sdwa v17, v5, v35 dst_sel:DWORD dst_unused:UNUSED_PAD src0_sel:DWORD src1_sel:WORD_1
	v_sub_f16_e32 v2, v43, v2
	v_sub_f16_e32 v14, v0, v51
	v_fma_f16 v5, v5, v35, -v15
	v_fmac_f16_e32 v17, v46, v35
	v_mul_f16_sdwa v15, v16, v36 dst_sel:DWORD dst_unused:UNUSED_PAD src0_sel:DWORD src1_sel:WORD_1
	v_mul_f16_sdwa v46, v6, v36 dst_sel:DWORD dst_unused:UNUSED_PAD src0_sel:DWORD src1_sel:WORD_1
	;; [unrolled: 1-line block ×4, first 2 shown]
	v_fma_f16 v43, v43, 2.0, -v2
	v_fma_f16 v6, v6, v36, -v15
	v_fmac_f16_e32 v46, v16, v36
	v_fma_f16 v0, v0, 2.0, -v14
	v_fma_f16 v15, v44, v37, -v50
	v_fmac_f16_e32 v51, v49, v37
	v_pack_b32_f16 v2, v2, v14
	v_sub_f16_e32 v5, v3, v5
	v_sub_f16_e32 v14, v45, v17
	;; [unrolled: 1-line block ×4, first 2 shown]
	v_pack_b32_f16 v0, v43, v0
	v_sub_f16_e32 v15, v1, v15
	v_sub_f16_e32 v43, v48, v51
	v_fma_f16 v3, v3, 2.0, -v5
	v_fma_f16 v16, v45, 2.0, -v14
	v_pack_b32_f16 v5, v5, v14
	v_fma_f16 v4, v4, 2.0, -v6
	v_fma_f16 v14, v47, 2.0, -v17
	;; [unrolled: 1-line block ×4, first 2 shown]
	v_pack_b32_f16 v3, v3, v16
	v_pack_b32_f16 v6, v6, v17
	;; [unrolled: 1-line block ×5, first 2 shown]
	ds_write2_b32 v39, v0, v2 offset1:5
	ds_write2_b32 v40, v3, v5 offset1:5
	;; [unrolled: 1-line block ×4, first 2 shown]
	s_waitcnt lgkmcnt(0)
	s_barrier
	buffer_gl0_inv
	s_clause 0x1
	global_load_dwordx4 v[0:3], v[12:13], off offset:20
	global_load_dwordx3 v[4:6], v[12:13], off offset:36
	ds_read_b32 v43, v29
	ds_read2_b32 v[12:13], v18 offset0:10 offset1:20
	ds_read2_b32 v[14:15], v18 offset0:30 offset1:40
	;; [unrolled: 1-line block ×3, first 2 shown]
	ds_read_b32 v44, v18 offset:280
	s_waitcnt lgkmcnt(4)
	v_lshrrev_b32_e32 v45, 16, v43
	s_waitcnt lgkmcnt(3)
	v_lshrrev_b32_e32 v46, 16, v12
	v_lshrrev_b32_e32 v47, 16, v13
	s_waitcnt lgkmcnt(2)
	v_lshrrev_b32_e32 v48, 16, v14
	;; [unrolled: 3-line block ×4, first 2 shown]
	s_waitcnt vmcnt(1)
	v_mul_f16_sdwa v53, v46, v0 dst_sel:DWORD dst_unused:UNUSED_PAD src0_sel:DWORD src1_sel:WORD_1
	v_mul_f16_sdwa v54, v12, v0 dst_sel:DWORD dst_unused:UNUSED_PAD src0_sel:DWORD src1_sel:WORD_1
	;; [unrolled: 1-line block ×8, first 2 shown]
	s_waitcnt vmcnt(0)
	v_mul_f16_sdwa v61, v50, v4 dst_sel:DWORD dst_unused:UNUSED_PAD src0_sel:DWORD src1_sel:WORD_1
	v_mul_f16_sdwa v62, v16, v4 dst_sel:DWORD dst_unused:UNUSED_PAD src0_sel:DWORD src1_sel:WORD_1
	;; [unrolled: 1-line block ×6, first 2 shown]
	v_fma_f16 v12, v12, v0, -v53
	v_fmac_f16_e32 v54, v46, v0
	v_fma_f16 v13, v13, v1, -v55
	v_fmac_f16_e32 v56, v47, v1
	;; [unrolled: 2-line block ×7, first 2 shown]
	v_sub_f16_e32 v15, v43, v15
	v_sub_f16_e32 v46, v45, v60
	;; [unrolled: 1-line block ×8, first 2 shown]
	v_fma_f16 v43, v43, 2.0, -v15
	v_fma_f16 v45, v45, 2.0, -v46
	;; [unrolled: 1-line block ×8, first 2 shown]
	v_add_f16_e32 v17, v46, v17
	v_sub_f16_e32 v47, v15, v47
	v_sub_f16_e32 v49, v16, v49
	v_add_f16_e32 v53, v48, v44
	v_sub_f16_e32 v54, v43, v13
	v_sub_f16_e32 v50, v45, v50
	v_fma_f16 v55, v46, 2.0, -v17
	v_sub_f16_e32 v14, v12, v14
	v_sub_f16_e32 v46, v51, v52
	v_fma_f16 v15, v15, 2.0, -v47
	v_fma_f16 v16, v16, 2.0, -v49
	;; [unrolled: 1-line block ×3, first 2 shown]
	v_fmamk_f16 v13, v49, 0x39a8, v47
	v_fmamk_f16 v44, v53, 0x39a8, v17
	v_fma_f16 v52, v43, 2.0, -v54
	v_fma_f16 v56, v45, 2.0, -v50
	;; [unrolled: 1-line block ×4, first 2 shown]
	v_fmamk_f16 v43, v16, 0xb9a8, v15
	v_fmamk_f16 v45, v48, 0xb9a8, v55
	v_sub_f16_e32 v12, v54, v46
	v_add_f16_e32 v46, v50, v14
	v_fmac_f16_e32 v13, 0xb9a8, v53
	v_fmac_f16_e32 v44, 0x39a8, v49
	v_sub_f16_e32 v14, v52, v57
	v_sub_f16_e32 v49, v56, v51
	v_fmac_f16_e32 v43, 0xb9a8, v48
	v_fmac_f16_e32 v45, 0x39a8, v16
	v_fma_f16 v48, v50, 2.0, -v46
	v_fma_f16 v47, v47, 2.0, -v13
	;; [unrolled: 1-line block ×8, first 2 shown]
	v_pack_b32_f16 v17, v47, v17
	v_pack_b32_f16 v47, v50, v51
	;; [unrolled: 1-line block ×8, first 2 shown]
	ds_write_b32 v29, v47
	ds_write2_b32 v18, v15, v16 offset0:10 offset1:20
	ds_write2_b32 v18, v17, v14 offset0:30 offset1:40
	;; [unrolled: 1-line block ×3, first 2 shown]
	ds_write_b32 v18, v49 offset:280
	s_waitcnt lgkmcnt(0)
	s_barrier
	buffer_gl0_inv
	global_load_dword v15, v[7:8], off offset:320
	v_lshlrev_b32_e32 v14, 2, v25
	s_clause 0x3
	global_load_dword v17, v14, s[0:1] offset:64
	global_load_dword v49, v14, s[0:1] offset:128
	;; [unrolled: 1-line block ×4, first 2 shown]
	ds_read_b32 v16, v29
	s_waitcnt lgkmcnt(0)
	v_lshrrev_b32_e32 v47, 16, v16
	s_waitcnt vmcnt(4)
	v_mul_f16_sdwa v48, v47, v15 dst_sel:DWORD dst_unused:UNUSED_PAD src0_sel:DWORD src1_sel:WORD_1
	v_mul_f16_sdwa v52, v16, v15 dst_sel:DWORD dst_unused:UNUSED_PAD src0_sel:DWORD src1_sel:WORD_1
	v_fma_f16 v16, v16, v15, -v48
	v_fmac_f16_e32 v52, v47, v15
	v_pack_b32_f16 v15, v16, v52
	ds_write_b32 v29, v15
	ds_read2_b32 v[15:16], v18 offset0:16 offset1:32
	ds_read2_b32 v[47:48], v18 offset0:48 offset1:64
	s_waitcnt lgkmcnt(1)
	v_lshrrev_b32_e32 v52, 16, v15
	s_waitcnt vmcnt(3)
	v_mul_f16_sdwa v53, v15, v17 dst_sel:DWORD dst_unused:UNUSED_PAD src0_sel:DWORD src1_sel:WORD_1
	v_lshrrev_b32_e32 v54, 16, v16
	s_waitcnt vmcnt(2)
	v_mul_f16_sdwa v55, v16, v49 dst_sel:DWORD dst_unused:UNUSED_PAD src0_sel:DWORD src1_sel:WORD_1
	s_waitcnt lgkmcnt(0)
	v_lshrrev_b32_e32 v56, 16, v47
	s_waitcnt vmcnt(1)
	v_mul_f16_sdwa v57, v47, v50 dst_sel:DWORD dst_unused:UNUSED_PAD src0_sel:DWORD src1_sel:WORD_1
	v_lshrrev_b32_e32 v58, 16, v48
	v_mul_f16_sdwa v60, v52, v17 dst_sel:DWORD dst_unused:UNUSED_PAD src0_sel:DWORD src1_sel:WORD_1
	v_fmac_f16_e32 v53, v52, v17
	v_mul_f16_sdwa v52, v54, v49 dst_sel:DWORD dst_unused:UNUSED_PAD src0_sel:DWORD src1_sel:WORD_1
	s_waitcnt vmcnt(0)
	v_mul_f16_sdwa v59, v48, v51 dst_sel:DWORD dst_unused:UNUSED_PAD src0_sel:DWORD src1_sel:WORD_1
	v_fmac_f16_e32 v55, v54, v49
	v_mul_f16_sdwa v54, v56, v50 dst_sel:DWORD dst_unused:UNUSED_PAD src0_sel:DWORD src1_sel:WORD_1
	v_fmac_f16_e32 v57, v56, v50
	v_mul_f16_sdwa v56, v58, v51 dst_sel:DWORD dst_unused:UNUSED_PAD src0_sel:DWORD src1_sel:WORD_1
	v_fma_f16 v15, v15, v17, -v60
	v_fma_f16 v16, v16, v49, -v52
	v_fmac_f16_e32 v59, v58, v51
	v_fma_f16 v17, v47, v50, -v54
	v_fma_f16 v47, v48, v51, -v56
	v_pack_b32_f16 v15, v15, v53
	v_pack_b32_f16 v16, v16, v55
	;; [unrolled: 1-line block ×4, first 2 shown]
	ds_write2_b32 v18, v15, v16 offset0:16 offset1:32
	ds_write2_b32 v18, v17, v47 offset0:48 offset1:64
	s_and_saveexec_b32 s2, vcc_lo
	s_cbranch_execz .LBB0_9
; %bb.8:
	v_add_co_u32 v14, s0, s0, v14
	v_add_co_ci_u32_e64 v15, null, s1, 0, s0
	s_clause 0x4
	global_load_dword v47, v[14:15], off offset:40
	global_load_dword v48, v[14:15], off offset:104
	;; [unrolled: 1-line block ×5, first 2 shown]
	ds_read2_b32 v[14:15], v18 offset0:10 offset1:26
	ds_read2_b32 v[16:17], v18 offset0:42 offset1:58
	ds_read_b32 v52, v18 offset:296
	s_waitcnt lgkmcnt(2)
	v_lshrrev_b32_e32 v53, 16, v14
	v_lshrrev_b32_e32 v54, 16, v15
	s_waitcnt lgkmcnt(1)
	v_lshrrev_b32_e32 v55, 16, v16
	v_lshrrev_b32_e32 v56, 16, v17
	s_waitcnt lgkmcnt(0)
	v_lshrrev_b32_e32 v57, 16, v52
	s_waitcnt vmcnt(4)
	v_mul_f16_sdwa v58, v53, v47 dst_sel:DWORD dst_unused:UNUSED_PAD src0_sel:DWORD src1_sel:WORD_1
	v_mul_f16_sdwa v59, v14, v47 dst_sel:DWORD dst_unused:UNUSED_PAD src0_sel:DWORD src1_sel:WORD_1
	s_waitcnt vmcnt(3)
	v_mul_f16_sdwa v60, v54, v48 dst_sel:DWORD dst_unused:UNUSED_PAD src0_sel:DWORD src1_sel:WORD_1
	v_mul_f16_sdwa v61, v15, v48 dst_sel:DWORD dst_unused:UNUSED_PAD src0_sel:DWORD src1_sel:WORD_1
	;; [unrolled: 3-line block ×5, first 2 shown]
	v_fma_f16 v14, v14, v47, -v58
	v_fmac_f16_e32 v59, v53, v47
	v_fma_f16 v15, v15, v48, -v60
	v_fmac_f16_e32 v61, v54, v48
	;; [unrolled: 2-line block ×5, first 2 shown]
	v_pack_b32_f16 v14, v14, v59
	v_pack_b32_f16 v15, v15, v61
	;; [unrolled: 1-line block ×5, first 2 shown]
	ds_write2_b32 v18, v14, v15 offset0:10 offset1:26
	ds_write2_b32 v18, v16, v17 offset0:42 offset1:58
	ds_write_b32 v18, v47 offset:296
.LBB0_9:
	s_or_b32 exec_lo, exec_lo, s2
	s_waitcnt lgkmcnt(0)
	s_barrier
	buffer_gl0_inv
	ds_read_b32 v47, v29
	ds_read2_b32 v[16:17], v18 offset0:16 offset1:32
	ds_read2_b32 v[14:15], v18 offset0:48 offset1:64
	s_and_saveexec_b32 s0, vcc_lo
	s_cbranch_execz .LBB0_11
; %bb.10:
	v_lshlrev_b32_e32 v10, 2, v30
	v_lshl_add_u32 v10, v25, 2, v10
	ds_read_b32 v43, v18 offset:40
	ds_read2_b32 v[12:13], v10 offset0:26 offset1:42
	ds_read2_b32 v[10:11], v10 offset0:58 offset1:74
	s_waitcnt lgkmcnt(2)
	v_lshrrev_b32_e32 v45, 16, v43
	s_waitcnt lgkmcnt(1)
	v_lshrrev_b32_e32 v46, 16, v12
	v_lshrrev_b32_e32 v44, 16, v13
	s_waitcnt lgkmcnt(0)
	v_lshrrev_b32_e32 v32, 16, v10
	v_lshrrev_b32_e32 v31, 16, v11
.LBB0_11:
	s_or_b32 exec_lo, exec_lo, s0
	s_waitcnt lgkmcnt(0)
	v_pk_add_f16 v48, v17, v14
	v_pk_add_f16 v49, v16, v15 neg_lo:[0,1] neg_hi:[0,1]
	v_pk_add_f16 v51, v17, v14 neg_lo:[0,1] neg_hi:[0,1]
	v_pk_add_f16 v53, v16, v15
	v_pk_add_f16 v50, v47, v16
	v_pk_fma_f16 v48, v48, 0.5, v47 op_sel_hi:[1,0,1] neg_lo:[1,0,0] neg_hi:[1,0,0]
	v_pk_mul_f16 v52, 0x3b9c, v49 op_sel_hi:[0,1]
	v_pk_mul_f16 v54, 0x38b4, v51 op_sel_hi:[0,1]
	v_pk_fma_f16 v47, v53, 0.5, v47 op_sel_hi:[1,0,1] neg_lo:[1,0,0] neg_hi:[1,0,0]
	v_pk_mul_f16 v51, 0x3b9c, v51 op_sel_hi:[0,1]
	v_pk_mul_f16 v49, 0x38b4, v49 op_sel_hi:[0,1]
	v_pk_add_f16 v56, v48, v52 op_sel:[0,1] op_sel_hi:[1,0] neg_lo:[0,1] neg_hi:[0,1]
	v_pk_add_f16 v48, v48, v52 op_sel:[0,1] op_sel_hi:[1,0]
	v_pk_add_f16 v50, v50, v17
	v_pk_add_f16 v55, v16, v17 neg_lo:[0,1] neg_hi:[0,1]
	v_pk_add_f16 v53, v15, v14 neg_lo:[0,1] neg_hi:[0,1]
	v_pk_add_f16 v52, v56, v54 op_sel:[0,1] op_sel_hi:[1,0] neg_lo:[0,1] neg_hi:[0,1]
	v_pk_add_f16 v56, v47, v51 op_sel:[0,1] op_sel_hi:[1,0]
	v_pk_add_f16 v47, v47, v51 op_sel:[0,1] op_sel_hi:[1,0] neg_lo:[0,1] neg_hi:[0,1]
	v_pk_add_f16 v48, v48, v54 op_sel:[0,1] op_sel_hi:[1,0]
	v_pk_add_f16 v16, v17, v16 neg_lo:[0,1] neg_hi:[0,1]
	v_pk_add_f16 v17, v14, v15 neg_lo:[0,1] neg_hi:[0,1]
	v_pk_add_f16 v51, v56, v49 op_sel:[0,1] op_sel_hi:[1,0] neg_lo:[0,1] neg_hi:[0,1]
	v_pk_add_f16 v47, v47, v49 op_sel:[0,1] op_sel_hi:[1,0]
	v_pk_add_f16 v14, v50, v14
	v_pk_add_f16 v49, v55, v53
	v_bfi_b32 v50, 0xffff, v52, v48
	v_pk_add_f16 v16, v16, v17
	v_bfi_b32 v17, 0xffff, v51, v47
	v_bfi_b32 v47, 0xffff, v47, v51
	v_bfi_b32 v48, 0xffff, v48, v52
	v_pk_add_f16 v14, v14, v15
	v_pk_fma_f16 v15, 0x34f2, v49, v50 op_sel_hi:[0,1,1]
	v_pk_fma_f16 v17, 0x34f2, v16, v17 op_sel_hi:[0,1,1]
	;; [unrolled: 1-line block ×4, first 2 shown]
	s_barrier
	buffer_gl0_inv
	ds_write2_b32 v38, v14, v15 offset1:1
	ds_write2_b32 v38, v17, v16 offset0:2 offset1:3
	ds_write_b32 v38, v47 offset:16
	s_and_saveexec_b32 s0, vcc_lo
	s_cbranch_execz .LBB0_13
; %bb.12:
	v_add_f16_e32 v14, v31, v46
	v_sub_f16_e32 v48, v13, v12
	v_sub_f16_e32 v51, v10, v11
	v_add_f16_e32 v53, v32, v44
	v_add_f16_e32 v54, v10, v13
	v_add_f16_e32 v38, v11, v12
	v_fma_f16 v14, -0.5, v14, v45
	v_sub_f16_e32 v47, v12, v11
	v_sub_f16_e32 v52, v46, v31
	v_add_f16_e32 v48, v51, v48
	v_fma_f16 v51, -0.5, v53, v45
	v_fma_f16 v54, -0.5, v54, v43
	v_add_f16_e32 v45, v46, v45
	v_sub_f16_e32 v56, v12, v13
	v_add_f16_e32 v12, v12, v43
	v_sub_f16_e32 v15, v44, v46
	v_sub_f16_e32 v16, v32, v31
	;; [unrolled: 1-line block ×4, first 2 shown]
	v_fma_f16 v38, -0.5, v38, v43
	v_sub_f16_e32 v53, v46, v44
	v_sub_f16_e32 v55, v31, v32
	v_fmamk_f16 v46, v47, 0x3b9c, v51
	v_sub_f16_e32 v57, v11, v10
	v_fmamk_f16 v58, v52, 0xbb9c, v54
	v_add_f16_e32 v44, v44, v45
	v_add_f16_e32 v12, v13, v12
	v_fmamk_f16 v50, v17, 0xbb9c, v14
	v_add_f16_e32 v15, v16, v15
	v_fmamk_f16 v16, v49, 0x3b9c, v38
	v_fmac_f16_e32 v14, 0x3b9c, v17
	v_fmac_f16_e32 v38, 0xbb9c, v49
	v_fmac_f16_e32 v51, 0xbb9c, v47
	v_fmac_f16_e32 v54, 0x3b9c, v52
	v_add_f16_e32 v45, v55, v53
	v_fmac_f16_e32 v46, 0x38b4, v17
	v_add_f16_e32 v53, v57, v56
	v_fmac_f16_e32 v58, 0xb8b4, v49
	v_add_f16_e32 v32, v32, v44
	v_add_f16_e32 v10, v10, v12
	v_fmac_f16_e32 v50, 0x38b4, v47
	v_fmac_f16_e32 v16, 0xb8b4, v52
	;; [unrolled: 1-line block ×8, first 2 shown]
	v_add_f16_e32 v31, v31, v32
	v_add_f16_e32 v10, v11, v10
	v_fmac_f16_e32 v50, 0x34f2, v15
	v_fmac_f16_e32 v16, 0x34f2, v48
	;; [unrolled: 1-line block ×6, first 2 shown]
	v_add_lshl_u32 v11, v30, v33, 2
	v_pack_b32_f16 v12, v58, v46
	v_pack_b32_f16 v10, v10, v31
	;; [unrolled: 1-line block ×5, first 2 shown]
	ds_write2_b32 v11, v10, v12 offset1:1
	ds_write2_b32 v11, v14, v13 offset0:2 offset1:3
	ds_write_b32 v11, v15 offset:16
.LBB0_13:
	s_or_b32 exec_lo, exec_lo, s0
	s_waitcnt lgkmcnt(0)
	s_barrier
	buffer_gl0_inv
	ds_read_b32 v16, v29
	ds_read2_b32 v[10:11], v18 offset0:30 offset1:40
	ds_read2_b32 v[12:13], v18 offset0:10 offset1:20
	;; [unrolled: 1-line block ×3, first 2 shown]
	ds_read_b32 v17, v18 offset:280
	s_waitcnt lgkmcnt(0)
	s_barrier
	buffer_gl0_inv
	s_mov_b32 s4, 0x9999999a
	s_mov_b32 s5, 0x3f899999
	v_lshrrev_b32_e32 v30, 16, v16
	v_lshrrev_b32_e32 v31, 16, v11
	v_mul_f16_sdwa v46, v34, v11 dst_sel:DWORD dst_unused:UNUSED_PAD src0_sel:WORD_1 src1_sel:DWORD
	v_lshrrev_b32_e32 v33, 16, v14
	v_lshrrev_b32_e32 v43, 16, v15
	v_mul_f16_sdwa v47, v35, v14 dst_sel:DWORD dst_unused:UNUSED_PAD src0_sel:WORD_1 src1_sel:DWORD
	v_lshrrev_b32_e32 v45, 16, v17
	v_mul_f16_sdwa v48, v36, v15 dst_sel:DWORD dst_unused:UNUSED_PAD src0_sel:WORD_1 src1_sel:DWORD
	v_mul_f16_sdwa v50, v34, v31 dst_sel:DWORD dst_unused:UNUSED_PAD src0_sel:WORD_1 src1_sel:DWORD
	v_fma_f16 v31, v34, v31, -v46
	v_mul_f16_sdwa v46, v35, v33 dst_sel:DWORD dst_unused:UNUSED_PAD src0_sel:WORD_1 src1_sel:DWORD
	v_fma_f16 v33, v35, v33, -v47
	v_mul_f16_sdwa v47, v36, v43 dst_sel:DWORD dst_unused:UNUSED_PAD src0_sel:WORD_1 src1_sel:DWORD
	v_mul_f16_sdwa v49, v37, v17 dst_sel:DWORD dst_unused:UNUSED_PAD src0_sel:WORD_1 src1_sel:DWORD
	v_fma_f16 v43, v36, v43, -v48
	v_mul_f16_sdwa v48, v37, v45 dst_sel:DWORD dst_unused:UNUSED_PAD src0_sel:WORD_1 src1_sel:DWORD
	v_fmac_f16_e32 v50, v34, v11
	v_lshrrev_b32_e32 v32, 16, v12
	v_fmac_f16_e32 v46, v35, v14
	v_lshrrev_b32_e32 v38, 16, v13
	v_fmac_f16_e32 v47, v36, v15
	v_lshrrev_b32_e32 v44, 16, v10
	v_fma_f16 v45, v37, v45, -v49
	v_fmac_f16_e32 v48, v37, v17
	v_sub_f16_e32 v11, v30, v31
	v_sub_f16_e32 v15, v16, v50
	;; [unrolled: 1-line block ×8, first 2 shown]
	v_fma_f16 v30, v30, 2.0, -v11
	v_fma_f16 v16, v16, 2.0, -v15
	;; [unrolled: 1-line block ×8, first 2 shown]
	v_pack_b32_f16 v16, v16, v30
	v_pack_b32_f16 v11, v15, v11
	;; [unrolled: 1-line block ×8, first 2 shown]
	ds_write2_b32 v39, v16, v11 offset1:5
	ds_write2_b32 v40, v12, v14 offset1:5
	;; [unrolled: 1-line block ×4, first 2 shown]
	s_waitcnt lgkmcnt(0)
	s_barrier
	buffer_gl0_inv
	ds_read_b32 v16, v29
	ds_read2_b32 v[10:11], v18 offset0:10 offset1:20
	ds_read2_b32 v[12:13], v18 offset0:30 offset1:40
	;; [unrolled: 1-line block ×3, first 2 shown]
	ds_read_b32 v17, v18 offset:280
	s_waitcnt lgkmcnt(4)
	v_lshrrev_b32_e32 v30, 16, v16
	s_waitcnt lgkmcnt(3)
	v_lshrrev_b32_e32 v31, 16, v10
	v_lshrrev_b32_e32 v32, 16, v11
	s_waitcnt lgkmcnt(2)
	v_lshrrev_b32_e32 v33, 16, v12
	;; [unrolled: 3-line block ×3, first 2 shown]
	v_mul_f16_sdwa v37, v0, v31 dst_sel:DWORD dst_unused:UNUSED_PAD src0_sel:WORD_1 src1_sel:DWORD
	v_mul_f16_sdwa v40, v1, v32 dst_sel:DWORD dst_unused:UNUSED_PAD src0_sel:WORD_1 src1_sel:DWORD
	;; [unrolled: 1-line block ×4, first 2 shown]
	v_lshrrev_b32_e32 v36, 16, v15
	v_fmac_f16_e32 v37, v0, v10
	v_mul_f16_sdwa v10, v2, v33 dst_sel:DWORD dst_unused:UNUSED_PAD src0_sel:WORD_1 src1_sel:DWORD
	v_fmac_f16_e32 v40, v1, v11
	v_mul_f16_sdwa v11, v2, v12 dst_sel:DWORD dst_unused:UNUSED_PAD src0_sel:WORD_1 src1_sel:DWORD
	s_waitcnt lgkmcnt(0)
	v_lshrrev_b32_e32 v38, 16, v17
	v_fma_f16 v0, v0, v31, -v39
	v_fma_f16 v1, v1, v32, -v41
	v_fmac_f16_e32 v10, v2, v12
	v_mul_f16_sdwa v12, v3, v34 dst_sel:DWORD dst_unused:UNUSED_PAD src0_sel:WORD_1 src1_sel:DWORD
	v_mul_f16_sdwa v31, v3, v13 dst_sel:DWORD dst_unused:UNUSED_PAD src0_sel:WORD_1 src1_sel:DWORD
	;; [unrolled: 1-line block ×3, first 2 shown]
	v_fma_f16 v2, v2, v33, -v11
	v_mul_f16_sdwa v11, v4, v14 dst_sel:DWORD dst_unused:UNUSED_PAD src0_sel:WORD_1 src1_sel:DWORD
	v_fmac_f16_e32 v12, v3, v13
	v_fma_f16 v3, v3, v34, -v31
	v_fmac_f16_e32 v32, v4, v14
	v_mul_f16_sdwa v13, v5, v36 dst_sel:DWORD dst_unused:UNUSED_PAD src0_sel:WORD_1 src1_sel:DWORD
	v_fma_f16 v4, v4, v35, -v11
	v_mul_f16_sdwa v11, v5, v15 dst_sel:DWORD dst_unused:UNUSED_PAD src0_sel:WORD_1 src1_sel:DWORD
	v_mul_f16_sdwa v14, v6, v38 dst_sel:DWORD dst_unused:UNUSED_PAD src0_sel:WORD_1 src1_sel:DWORD
	;; [unrolled: 1-line block ×3, first 2 shown]
	v_fmac_f16_e32 v13, v5, v15
	v_sub_f16_e32 v12, v16, v12
	v_fma_f16 v5, v5, v36, -v11
	v_fmac_f16_e32 v14, v6, v17
	v_fma_f16 v6, v6, v38, -v31
	v_sub_f16_e32 v3, v30, v3
	v_sub_f16_e32 v4, v0, v4
	;; [unrolled: 1-line block ×3, first 2 shown]
	v_fma_f16 v11, v16, 2.0, -v12
	v_sub_f16_e32 v6, v2, v6
	v_sub_f16_e32 v13, v40, v13
	;; [unrolled: 1-line block ×3, first 2 shown]
	v_fma_f16 v16, v30, 2.0, -v3
	v_fma_f16 v1, v1, 2.0, -v5
	v_sub_f16_e32 v14, v10, v14
	v_fma_f16 v0, v0, 2.0, -v4
	v_fma_f16 v2, v2, 2.0, -v6
	;; [unrolled: 1-line block ×3, first 2 shown]
	v_sub_f16_e32 v1, v16, v1
	v_fma_f16 v10, v10, 2.0, -v14
	v_add_f16_e32 v5, v12, v5
	v_sub_f16_e32 v13, v3, v13
	v_add_f16_e32 v6, v15, v6
	v_sub_f16_e32 v2, v0, v2
	v_sub_f16_e32 v14, v4, v14
	v_fma_f16 v30, v37, 2.0, -v15
	v_fma_f16 v16, v16, 2.0, -v1
	;; [unrolled: 1-line block ×7, first 2 shown]
	v_sub_f16_e32 v17, v11, v17
	v_sub_f16_e32 v10, v30, v10
	v_fmamk_f16 v31, v15, 0xb9a8, v12
	v_sub_f16_e32 v0, v16, v0
	v_fmamk_f16 v32, v4, 0xb9a8, v3
	v_fma_f16 v11, v11, 2.0, -v17
	v_fma_f16 v30, v30, 2.0, -v10
	v_fmac_f16_e32 v31, 0x39a8, v4
	v_fma_f16 v4, v16, 2.0, -v0
	v_fmac_f16_e32 v32, 0xb9a8, v15
	v_fmamk_f16 v15, v6, 0x39a8, v5
	v_fmamk_f16 v16, v14, 0x39a8, v13
	v_sub_f16_e32 v30, v11, v30
	v_add_f16_e32 v2, v17, v2
	v_sub_f16_e32 v10, v1, v10
	v_fmac_f16_e32 v15, 0x39a8, v14
	v_fmac_f16_e32 v16, 0xb9a8, v6
	v_fma_f16 v11, v11, 2.0, -v30
	v_fma_f16 v12, v12, 2.0, -v31
	;; [unrolled: 1-line block ×7, first 2 shown]
	v_pack_b32_f16 v4, v11, v4
	v_pack_b32_f16 v3, v12, v3
	;; [unrolled: 1-line block ×8, first 2 shown]
	ds_write_b32 v29, v4
	ds_write2_b32 v18, v3, v1 offset0:10 offset1:20
	ds_write2_b32 v18, v5, v0 offset0:30 offset1:40
	;; [unrolled: 1-line block ×3, first 2 shown]
	ds_write_b32 v18, v10 offset:280
	s_waitcnt lgkmcnt(0)
	s_barrier
	buffer_gl0_inv
	ds_read_b32 v0, v29
	ds_read2_b32 v[4:5], v18 offset0:16 offset1:32
	v_mad_u64_u32 v[12:13], null, s10, v9, 0
	s_waitcnt lgkmcnt(1)
	v_lshrrev_b32_e32 v1, 16, v0
	v_mul_f16_sdwa v2, v28, v0 dst_sel:DWORD dst_unused:UNUSED_PAD src0_sel:WORD_1 src1_sel:DWORD
	s_waitcnt lgkmcnt(0)
	v_lshrrev_b32_e32 v6, 16, v4
	v_mul_f16_sdwa v3, v28, v1 dst_sel:DWORD dst_unused:UNUSED_PAD src0_sel:WORD_1 src1_sel:DWORD
	v_fma_f16 v1, v28, v1, -v2
	v_mul_f16_sdwa v10, v27, v6 dst_sel:DWORD dst_unused:UNUSED_PAD src0_sel:WORD_1 src1_sel:DWORD
	v_fmac_f16_e32 v3, v28, v0
	v_cvt_f32_f16_e32 v0, v1
	v_fmac_f16_e32 v10, v27, v4
	v_cvt_f32_f16_e32 v2, v3
	v_cvt_f64_f32_e32 v[0:1], v0
	v_cvt_f32_f16_e32 v10, v10
	v_cvt_f64_f32_e32 v[2:3], v2
	v_cvt_f64_f32_e32 v[10:11], v10
	v_mul_f64 v[0:1], v[0:1], s[4:5]
	v_mul_f64 v[2:3], v[2:3], s[4:5]
	v_and_or_b32 v0, 0x1ff, v1, v0
	v_lshrrev_b32_e32 v14, 8, v1
	v_bfe_u32 v28, v1, 20, 11
	v_and_or_b32 v2, 0x1ff, v3, v2
	v_cmp_ne_u32_e64 s0, 0, v0
	v_lshrrev_b32_e32 v15, 8, v3
	v_bfe_u32 v29, v3, 20, 11
	v_sub_nc_u32_e32 v16, 0x3f1, v28
	v_lshrrev_b32_e32 v3, 16, v3
	v_cndmask_b32_e64 v0, 0, 1, s0
	v_cmp_ne_u32_e64 s0, 0, v2
	v_sub_nc_u32_e32 v17, 0x3f1, v29
	v_med3_i32 v31, v16, 0, 13
	v_add_nc_u32_e32 v29, 0xfffffc10, v29
	v_and_or_b32 v30, 0xffe, v14, v0
	v_cndmask_b32_e64 v2, 0, 1, s0
	v_med3_i32 v32, v17, 0, 13
	v_mov_b32_e32 v0, v13
	v_or_b32_e32 v34, 0x1000, v30
	v_and_or_b32 v2, 0xffe, v15, v2
	v_mad_u64_u32 v[14:15], null, s8, v25, 0
	v_mad_u64_u32 v[16:17], null, s11, v9, v[0:1]
	v_or_b32_e32 v33, 0x1000, v2
	v_lshrrev_b32_e32 v35, v31, v34
	v_mul_f16_sdwa v0, v27, v4 dst_sel:DWORD dst_unused:UNUSED_PAD src0_sel:WORD_1 src1_sel:DWORD
	v_mul_f64 v[9:10], v[10:11], s[4:5]
	v_add_nc_u32_e32 v17, 0xfffffc10, v28
	v_lshrrev_b32_e32 v13, v32, v33
	v_lshlrev_b32_e32 v11, v31, v35
	v_fma_f16 v0, v27, v6, -v0
	v_lshl_or_b32 v6, v29, 12, v2
	v_lshlrev_b32_e32 v4, v32, v13
	v_cvt_f32_f16_e32 v0, v0
	v_cmp_ne_u32_e64 s0, v4, v33
	v_cvt_f64_f32_e32 v[27:28], v0
	v_cndmask_b32_e64 v4, 0, 1, s0
	v_cmp_ne_u32_e64 s0, v11, v34
	v_or_b32_e32 v4, v13, v4
	v_cndmask_b32_e64 v11, 0, 1, s0
	v_cmp_gt_i32_e64 s0, 1, v29
	v_lshl_or_b32 v13, v17, 12, v30
	v_and_or_b32 v0, 0x1ff, v10, v9
	v_or_b32_e32 v11, v35, v11
	v_cndmask_b32_e64 v4, v6, v4, s0
	v_cmp_gt_i32_e64 s0, 1, v17
	v_cndmask_b32_e64 v6, v13, v11, s0
	v_cmp_ne_u32_e64 s0, 0, v2
	v_and_b32_e32 v11, 7, v4
	v_lshrrev_b32_e32 v4, 2, v4
	v_mul_f64 v[27:28], v[27:28], s[4:5]
	v_and_b32_e32 v9, 7, v6
	v_cndmask_b32_e64 v2, 0, 1, s0
	v_cmp_lt_i32_e64 s0, 5, v11
	v_cmp_eq_u32_e64 s1, 3, v11
	v_lshrrev_b32_e32 v6, 2, v6
	v_cmp_lt_i32_e64 s2, 5, v9
	v_cmp_eq_u32_e64 s3, 3, v9
	v_lshl_or_b32 v2, v2, 9, 0x7c00
	s_or_b32 s0, s1, s0
	v_bfe_u32 v11, v10, 20, 11
	v_add_co_ci_u32_e64 v4, s0, 0, v4, s0
	s_or_b32 s0, s3, s2
	v_mov_b32_e32 v13, v16
	v_add_co_ci_u32_e64 v6, s0, 0, v6, s0
	v_cmp_gt_i32_e64 s0, 31, v29
	v_cndmask_b32_e64 v4, 0x7c00, v4, s0
	v_cmp_ne_u32_e64 s0, 0, v30
	v_lshrrev_b32_e32 v16, 8, v28
	v_cndmask_b32_e64 v9, 0, 1, s0
	v_cmp_gt_i32_e64 s0, 31, v17
	v_lshl_or_b32 v9, v9, 9, 0x7c00
	v_cndmask_b32_e64 v6, 0x7c00, v6, s0
	v_cmp_eq_u32_e64 s0, 0x40f, v29
	v_cndmask_b32_e64 v2, v4, v2, s0
	v_cmp_ne_u32_e64 s0, 0, v0
	v_lshrrev_b32_e32 v4, 8, v10
	v_and_or_b32 v2, 0x8000, v3, v2
	v_cndmask_b32_e64 v0, 0, 1, s0
	v_cmp_eq_u32_e64 s0, 0x40f, v17
	v_bfe_u32 v17, v28, 20, 11
	v_and_b32_e32 v2, 0xffff, v2
	v_and_or_b32 v29, 0xffe, v4, v0
	v_sub_nc_u32_e32 v4, 0x3f1, v11
	v_mov_b32_e32 v0, v15
	v_cndmask_b32_e64 v6, v6, v9, s0
	v_lshrrev_b32_e32 v15, 16, v1
	v_or_b32_e32 v9, 0x1000, v29
	v_med3_i32 v4, v4, 0, 13
	v_mad_u64_u32 v[0:1], null, s9, v25, v[0:1]
	v_and_or_b32 v3, 0x8000, v15, v6
	v_lshrrev_b32_e32 v6, 16, v5
	v_lshrrev_b32_e32 v1, v4, v9
	v_mov_b32_e32 v15, v0
	v_lshlrev_b32_e32 v4, v4, v1
	v_and_or_b32 v0, 0x1ff, v28, v27
	v_cmp_ne_u32_e64 s0, v4, v9
	v_add_nc_u32_e32 v9, 0xfffffc10, v11
	v_mul_f16_sdwa v11, v26, v6 dst_sel:DWORD dst_unused:UNUSED_PAD src0_sel:WORD_1 src1_sel:DWORD
	v_cndmask_b32_e64 v4, 0, 1, s0
	v_cmp_ne_u32_e64 s0, 0, v0
	v_fmac_f16_e32 v11, v26, v5
	v_mul_f16_sdwa v5, v26, v5 dst_sel:DWORD dst_unused:UNUSED_PAD src0_sel:WORD_1 src1_sel:DWORD
	v_or_b32_e32 v1, v1, v4
	v_cndmask_b32_e64 v0, 0, 1, s0
	v_lshl_or_b32 v4, v9, 12, v29
	v_cmp_gt_i32_e64 s0, 1, v9
	v_cvt_f32_f16_e32 v11, v11
	v_fma_f16 v5, v26, v6, -v5
	v_and_or_b32 v16, 0xffe, v16, v0
	v_sub_nc_u32_e32 v0, 0x3f1, v17
	v_cndmask_b32_e64 v4, v4, v1, s0
	v_or_b32_e32 v25, 0x1000, v16
	v_med3_i32 v27, v0, 0, 13
	v_lshlrev_b64 v[0:1], 2, v[12:13]
	v_cvt_f64_f32_e32 v[11:12], v11
	v_and_b32_e32 v30, 7, v4
	v_lshl_or_b32 v13, v3, 16, v2
	v_lshrrev_b32_e32 v31, v27, v25
	v_lshrrev_b32_e32 v4, 2, v4
	v_add_co_u32 v2, s0, s6, v0
	v_add_co_ci_u32_e64 v3, s0, s7, v1, s0
	v_lshlrev_b64 v[0:1], 2, v[14:15]
	v_lshlrev_b32_e32 v14, v27, v31
	v_cmp_lt_i32_e64 s0, 5, v30
	v_cmp_eq_u32_e64 s1, 3, v30
	v_add_nc_u32_e32 v15, 0xfffffc10, v17
	v_cvt_f32_f16_e32 v17, v5
	v_cmp_ne_u32_e64 s2, v14, v25
	s_or_b32 s0, s1, s0
	v_lshl_or_b32 v25, v15, 12, v16
	v_add_co_ci_u32_e64 v6, s0, 0, v4, s0
	v_cndmask_b32_e64 v14, 0, 1, s2
	v_cmp_ne_u32_e64 s0, 0, v29
	v_mul_f64 v[4:5], v[11:12], s[4:5]
	v_cvt_f64_f32_e32 v[11:12], v17
	v_cmp_eq_u32_e64 s2, 0x40f, v9
	v_or_b32_e32 v14, v31, v14
	v_cndmask_b32_e64 v26, 0, 1, s0
	v_cmp_gt_i32_e64 s0, 1, v15
	v_cndmask_b32_e64 v14, v25, v14, s0
	v_add_co_u32 v0, s0, v2, v0
	v_add_co_ci_u32_e64 v1, s0, v3, v1, s0
	v_and_b32_e32 v17, 7, v14
	v_cmp_gt_i32_e64 s0, 31, v9
	v_lshl_or_b32 v25, v26, 9, 0x7c00
	v_lshrrev_b32_e32 v9, 2, v14
	global_store_dword v[0:1], v13, off
	v_cmp_eq_u32_e64 s1, 3, v17
	v_cndmask_b32_e64 v6, 0x7c00, v6, s0
	v_cmp_lt_i32_e64 s0, 5, v17
	v_lshrrev_b32_e32 v17, 16, v10
	v_and_or_b32 v4, 0x1ff, v5, v4
	v_lshrrev_b32_e32 v26, 8, v5
	v_cndmask_b32_e64 v6, v6, v25, s2
	s_or_b32 s0, s1, s0
	v_bfe_u32 v27, v5, 20, 11
	v_add_co_ci_u32_e64 v25, s0, 0, v9, s0
	v_mul_f64 v[9:10], v[11:12], s[4:5]
	v_cmp_ne_u32_e64 s0, 0, v16
	ds_read2_b32 v[13:14], v18 offset0:48 offset1:64
	v_mad_u64_u32 v[11:12], null, s8, v23, 0
	v_and_or_b32 v6, 0x8000, v17, v6
	v_cndmask_b32_e64 v16, 0, 1, s0
	v_cmp_ne_u32_e64 s0, 0, v4
	v_and_b32_e32 v6, 0xffff, v6
	v_lshl_or_b32 v16, v16, 9, 0x7c00
	v_cndmask_b32_e64 v4, 0, 1, s0
	v_cmp_gt_i32_e64 s0, 31, v15
	v_and_or_b32 v26, 0xffe, v26, v4
	v_sub_nc_u32_e32 v4, 0x3f1, v27
	v_cndmask_b32_e64 v25, 0x7c00, v25, s0
	v_cmp_eq_u32_e64 s0, 0x40f, v15
	v_add_nc_u32_e32 v27, 0xfffffc10, v27
	v_or_b32_e32 v29, 0x1000, v26
	v_med3_i32 v30, v4, 0, 13
	v_and_or_b32 v9, 0x1ff, v10, v9
	v_mov_b32_e32 v4, v12
	v_cndmask_b32_e64 v17, v25, v16, s0
	v_lshrrev_b32_e32 v25, 16, v28
	v_lshrrev_b32_e32 v12, v30, v29
	v_cmp_ne_u32_e64 s0, 0, v9
	v_mad_u64_u32 v[15:16], null, s9, v23, v[4:5]
	v_lshrrev_b32_e32 v16, 8, v10
	v_lshlrev_b32_e32 v4, v30, v12
	v_cndmask_b32_e64 v9, 0, 1, s0
	v_bfe_u32 v28, v10, 20, 11
	s_waitcnt lgkmcnt(0)
	v_lshrrev_b32_e32 v23, 16, v13
	v_and_or_b32 v17, 0x8000, v25, v17
	v_cmp_ne_u32_e64 s0, v4, v29
	v_and_or_b32 v9, 0xffe, v16, v9
	v_sub_nc_u32_e32 v16, 0x3f1, v28
	v_mul_f16_sdwa v29, v24, v23 dst_sel:DWORD dst_unused:UNUSED_PAD src0_sel:WORD_1 src1_sel:DWORD
	v_lshl_or_b32 v17, v17, 16, v6
	v_cndmask_b32_e64 v4, 0, 1, s0
	v_or_b32_e32 v30, 0x1000, v9
	v_med3_i32 v31, v16, 0, 13
	v_fmac_f16_e32 v29, v24, v13
	v_cmp_gt_i32_e64 s0, 1, v27
	v_or_b32_e32 v4, v12, v4
	v_lshl_or_b32 v12, v27, 12, v26
	v_lshrrev_b32_e32 v25, v31, v30
	v_cvt_f32_f16_e32 v16, v29
	v_add_nc_u32_e32 v28, 0xfffffc10, v28
	v_mul_f16_sdwa v13, v24, v13 dst_sel:DWORD dst_unused:UNUSED_PAD src0_sel:WORD_1 src1_sel:DWORD
	v_cndmask_b32_e64 v4, v12, v4, s0
	v_lshlrev_b32_e32 v31, v31, v25
	v_mov_b32_e32 v12, v15
	v_cvt_f64_f32_e32 v[15:16], v16
	v_fma_f16 v13, v24, v23, -v13
	v_and_b32_e32 v29, 7, v4
	v_cmp_ne_u32_e64 s1, v31, v30
	v_lshrrev_b32_e32 v4, 2, v4
	v_lshlrev_b64 v[11:12], 2, v[11:12]
	v_cvt_f32_f16_e32 v13, v13
	v_cmp_lt_i32_e64 s0, 5, v29
	v_cndmask_b32_e64 v6, 0, 1, s1
	v_cmp_eq_u32_e64 s1, 3, v29
	v_lshrrev_b32_e32 v10, 16, v10
	v_cvt_f64_f32_e32 v[23:24], v13
	v_add_co_u32 v11, s2, v2, v11
	s_or_b32 s0, s1, s0
	v_or_b32_e32 v6, v25, v6
	v_add_co_ci_u32_e64 v4, s0, 0, v4, s0
	v_lshl_or_b32 v25, v28, 12, v9
	v_cmp_gt_i32_e64 s0, 1, v28
	v_add_co_ci_u32_e64 v12, s2, v3, v12, s2
	v_mul_f64 v[15:16], v[15:16], s[4:5]
	v_cmp_eq_u32_e64 s2, 0x40f, v27
	v_cndmask_b32_e64 v6, v25, v6, s0
	v_cmp_ne_u32_e64 s0, 0, v26
	v_and_b32_e32 v26, 7, v6
	v_cndmask_b32_e64 v25, 0, 1, s0
	v_cmp_gt_i32_e64 s0, 31, v27
	v_lshrrev_b32_e32 v6, 2, v6
	v_cmp_eq_u32_e64 s1, 3, v26
	v_lshl_or_b32 v13, v25, 9, 0x7c00
	v_cndmask_b32_e64 v4, 0x7c00, v4, s0
	v_cmp_lt_i32_e64 s0, 5, v26
	v_cndmask_b32_e64 v13, v4, v13, s2
	s_or_b32 s0, s1, s0
	v_add_co_ci_u32_e64 v4, s0, 0, v6, s0
	v_cmp_ne_u32_e64 s0, 0, v9
	v_and_or_b32 v15, 0x1ff, v16, v15
	v_lshrrev_b32_e32 v9, 16, v5
	v_lshrrev_b32_e32 v26, 8, v16
	v_bfe_u32 v27, v16, 20, 11
	v_cndmask_b32_e64 v6, 0, 1, s0
	v_cmp_gt_i32_e64 s0, 31, v28
	v_and_or_b32 v13, 0x8000, v9, v13
	v_lshl_or_b32 v6, v6, 9, 0x7c00
	v_cndmask_b32_e64 v25, 0x7c00, v4, s0
	v_mul_f64 v[4:5], v[23:24], s[4:5]
	v_cmp_ne_u32_e64 s0, 0, v15
	v_mad_u64_u32 v[23:24], null, s8, v21, 0
	v_cndmask_b32_e64 v15, 0, 1, s0
	v_cmp_eq_u32_e64 s0, 0x40f, v28
	v_lshrrev_b32_e32 v28, 16, v14
	v_and_or_b32 v15, 0xffe, v26, v15
	v_cndmask_b32_e64 v6, v25, v6, s0
	v_sub_nc_u32_e32 v25, 0x3f1, v27
	v_mul_f16_sdwa v26, v22, v28 dst_sel:DWORD dst_unused:UNUSED_PAD src0_sel:WORD_1 src1_sel:DWORD
	v_add_nc_u32_e32 v27, 0xfffffc10, v27
	v_or_b32_e32 v29, 0x1000, v15
	v_and_or_b32 v30, 0x8000, v10, v6
	v_med3_i32 v25, v25, 0, 13
	v_mov_b32_e32 v6, v24
	v_fmac_f16_e32 v26, v22, v14
	v_mul_f16_sdwa v14, v22, v14 dst_sel:DWORD dst_unused:UNUSED_PAD src0_sel:WORD_1 src1_sel:DWORD
	v_and_or_b32 v4, 0x1ff, v5, v4
	v_lshrrev_b32_e32 v24, v25, v29
	v_mad_u64_u32 v[9:10], null, s9, v21, v[6:7]
	v_and_b32_e32 v10, 0xffff, v13
	v_cmp_ne_u32_e64 s0, 0, v4
	v_lshlrev_b32_e32 v13, v25, v24
	v_cvt_f32_f16_e32 v6, v26
	v_bfe_u32 v31, v5, 20, 11
	v_lshl_or_b32 v21, v27, 12, v15
	v_cndmask_b32_e64 v4, 0, 1, s0
	v_cmp_ne_u32_e64 s0, v13, v29
	v_cvt_f64_f32_e32 v[25:26], v6
	v_lshrrev_b32_e32 v6, 8, v5
	v_fma_f16 v14, v22, v28, -v14
	v_lshl_or_b32 v30, v30, 16, v10
	v_cndmask_b32_e64 v13, 0, 1, s0
	v_cmp_gt_i32_e64 s0, 1, v27
	v_and_or_b32 v4, 0xffe, v6, v4
	v_sub_nc_u32_e32 v6, 0x3f1, v31
	v_or_b32_e32 v13, v24, v13
	v_mov_b32_e32 v24, v9
	v_or_b32_e32 v28, 0x1000, v4
	v_med3_i32 v6, v6, 0, 13
	v_cndmask_b32_e64 v29, v21, v13, s0
	v_cvt_f32_f16_e32 v13, v14
	v_lshlrev_b64 v[21:22], 2, v[23:24]
	v_lshrrev_b32_e32 v32, v6, v28
	v_add_nc_u32_e32 v24, 0xfffffc10, v31
	v_and_b32_e32 v33, 7, v29
	v_cvt_f64_f32_e32 v[9:10], v13
	v_lshrrev_b32_e32 v23, 2, v29
	v_mul_f64 v[13:14], v[25:26], s[4:5]
	v_lshlrev_b32_e32 v6, v6, v32
	v_cmp_lt_i32_e64 s0, 5, v33
	v_cmp_eq_u32_e64 s1, 3, v33
	v_lshl_or_b32 v25, v24, 12, v4
	v_cmp_ne_u32_e64 s2, v6, v28
	s_or_b32 s0, s1, s0
	v_add_co_ci_u32_e64 v23, s0, 0, v23, s0
	v_cmp_ne_u32_e64 s0, 0, v15
	v_cndmask_b32_e64 v6, 0, 1, s2
	v_cndmask_b32_e64 v15, 0, 1, s0
	v_cmp_gt_i32_e64 s0, 31, v27
	v_or_b32_e32 v6, v32, v6
	v_mul_f64 v[9:10], v[9:10], s[4:5]
	v_lshl_or_b32 v15, v15, 9, 0x7c00
	v_cndmask_b32_e64 v23, 0x7c00, v23, s0
	v_cmp_gt_i32_e64 s0, 1, v24
	v_and_or_b32 v13, 0x1ff, v14, v13
	v_bfe_u32 v28, v14, 20, 11
	v_cndmask_b32_e64 v6, v25, v6, s0
	v_cmp_eq_u32_e64 s0, 0x40f, v27
	v_lshrrev_b32_e32 v27, 8, v14
	v_lshrrev_b32_e32 v25, 16, v16
	v_and_b32_e32 v26, 7, v6
	v_cndmask_b32_e64 v23, v23, v15, s0
	v_cmp_ne_u32_e64 s0, 0, v13
	v_lshrrev_b32_e32 v6, 2, v6
	v_cmp_eq_u32_e64 s1, 3, v26
	v_and_or_b32 v23, 0x8000, v25, v23
	v_cndmask_b32_e64 v13, 0, 1, s0
	v_add_co_u32 v15, s0, v2, v21
	v_add_co_ci_u32_e64 v16, s0, v3, v22, s0
	v_cmp_lt_i32_e64 s0, 5, v26
	v_and_or_b32 v13, 0xffe, v27, v13
	v_sub_nc_u32_e32 v21, 0x3f1, v28
	v_and_or_b32 v9, 0x1ff, v10, v9
	v_lshrrev_b32_e32 v26, 8, v10
	s_or_b32 s0, s1, s0
	v_or_b32_e32 v22, 0x1000, v13
	v_add_co_ci_u32_e64 v6, s0, 0, v6, s0
	v_med3_i32 v21, v21, 0, 13
	v_cmp_ne_u32_e64 s0, 0, v9
	v_bfe_u32 v27, v10, 20, 11
	v_add_nc_u32_e32 v28, 0xfffffc10, v28
	v_lshrrev_b32_e32 v25, v21, v22
	v_cndmask_b32_e64 v9, 0, 1, s0
	v_cmp_ne_u32_e64 s0, 0, v4
	v_lshlrev_b32_e32 v21, v21, v25
	v_and_or_b32 v9, 0xffe, v26, v9
	v_cndmask_b32_e64 v4, 0, 1, s0
	v_sub_nc_u32_e32 v26, 0x3f1, v27
	v_cmp_gt_i32_e64 s0, 31, v24
	v_or_b32_e32 v29, 0x1000, v9
	v_lshl_or_b32 v4, v4, 9, 0x7c00
	v_med3_i32 v26, v26, 0, 13
	v_cndmask_b32_e64 v6, 0x7c00, v6, s0
	v_cmp_ne_u32_e64 s0, v21, v22
	v_mad_u64_u32 v[21:22], null, s8, v20, 0
	v_lshrrev_b32_e32 v32, v26, v29
	v_cndmask_b32_e64 v31, 0, 1, s0
	v_cmp_eq_u32_e64 s0, 0x40f, v24
	v_lshlrev_b32_e32 v24, v26, v32
	v_lshrrev_b32_e32 v26, 16, v5
	v_or_b32_e32 v25, v25, v31
	v_lshl_or_b32 v31, v28, 12, v13
	v_cndmask_b32_e64 v6, v6, v4, s0
	v_cmp_gt_i32_e64 s0, 1, v28
	v_mov_b32_e32 v4, v22
	v_cndmask_b32_e64 v25, v31, v25, s0
	v_cmp_ne_u32_e64 s0, v24, v29
	v_add_nc_u32_e32 v24, 0xfffffc10, v27
	v_mad_u64_u32 v[4:5], null, s9, v20, v[4:5]
	v_and_b32_e32 v27, 7, v25
	v_cndmask_b32_e64 v22, 0, 1, s0
	v_lshl_or_b32 v20, v24, 12, v9
	v_cmp_gt_i32_e64 s2, 1, v24
	v_cmp_lt_i32_e64 s0, 5, v27
	v_or_b32_e32 v5, v32, v22
	v_cmp_eq_u32_e64 s1, 3, v27
	v_lshrrev_b32_e32 v22, 2, v25
	v_cndmask_b32_e64 v5, v20, v5, s2
	s_or_b32 s0, s1, s0
	v_and_or_b32 v20, 0x8000, v26, v6
	v_add_co_ci_u32_e64 v6, s0, 0, v22, s0
	v_and_b32_e32 v25, 7, v5
	v_cmp_gt_i32_e64 s0, 31, v28
	v_cmp_ne_u32_e64 s2, 0, v13
	v_mov_b32_e32 v22, v4
	v_cmp_eq_u32_e64 s1, 3, v25
	v_cndmask_b32_e64 v26, 0x7c00, v6, s0
	v_cmp_lt_i32_e64 s0, 5, v25
	v_lshrrev_b32_e32 v6, 2, v5
	v_cndmask_b32_e64 v13, 0, 1, s2
	v_mad_u64_u32 v[4:5], null, s8, v19, 0
	s_or_b32 s0, s1, s0
	v_add_co_ci_u32_e64 v6, s0, 0, v6, s0
	v_cmp_ne_u32_e64 s0, 0, v9
	v_lshl_or_b32 v13, v13, 9, 0x7c00
	v_cndmask_b32_e64 v9, 0, 1, s0
	v_cmp_gt_i32_e64 s0, 31, v24
	v_lshl_or_b32 v9, v9, 9, 0x7c00
	v_cndmask_b32_e64 v25, 0x7c00, v6, s0
	v_cmp_eq_u32_e64 s0, 0x40f, v28
	v_mad_u64_u32 v[5:6], null, s9, v19, v[5:6]
	v_cndmask_b32_e64 v6, v26, v13, s0
	v_cmp_eq_u32_e64 s0, 0x40f, v24
	v_lshrrev_b32_e32 v13, 16, v14
	v_and_b32_e32 v14, 0xffff, v23
	v_lshrrev_b32_e32 v23, 16, v10
	v_lshlrev_b64 v[4:5], 2, v[4:5]
	v_cndmask_b32_e64 v19, v25, v9, s0
	v_lshlrev_b64 v[9:10], 2, v[21:22]
	v_and_or_b32 v6, 0x8000, v13, v6
	v_lshl_or_b32 v13, v20, 16, v14
	v_and_or_b32 v14, 0x8000, v23, v19
	v_and_b32_e32 v6, 0xffff, v6
	v_add_co_u32 v9, s0, v2, v9
	v_add_co_ci_u32_e64 v10, s0, v3, v10, s0
	v_add_co_u32 v2, s0, v2, v4
	v_lshl_or_b32 v6, v14, 16, v6
	v_add_co_ci_u32_e64 v3, s0, v3, v5, s0
	global_store_dword v[11:12], v17, off
	global_store_dword v[15:16], v30, off
	;; [unrolled: 1-line block ×4, first 2 shown]
	s_and_b32 exec_lo, exec_lo, vcc_lo
	s_cbranch_execz .LBB0_15
; %bb.14:
	s_clause 0x4
	global_load_dword v9, v[7:8], off offset:40
	global_load_dword v10, v[7:8], off offset:104
	;; [unrolled: 1-line block ×5, first 2 shown]
	ds_read2_b32 v[2:3], v18 offset0:10 offset1:26
	ds_read2_b32 v[4:5], v18 offset0:42 offset1:58
	ds_read_b32 v14, v18 offset:296
	v_mad_u64_u32 v[0:1], null, s8, 40, v[0:1]
	s_lshl_b64 s[0:1], s[8:9], 6
	s_waitcnt lgkmcnt(2)
	v_lshrrev_b32_e32 v8, 16, v2
	v_lshrrev_b32_e32 v15, 16, v3
	v_mad_u64_u32 v[6:7], null, s9, 40, v[1:2]
	s_waitcnt lgkmcnt(1)
	v_lshrrev_b32_e32 v16, 16, v4
	v_lshrrev_b32_e32 v17, 16, v5
	s_waitcnt lgkmcnt(0)
	v_lshrrev_b32_e32 v18, 16, v14
	v_mov_b32_e32 v1, v6
	v_add_co_u32 v6, vcc_lo, v0, s0
	v_add_co_ci_u32_e32 v7, vcc_lo, s1, v1, vcc_lo
	s_waitcnt vmcnt(4)
	v_mul_f16_sdwa v19, v8, v9 dst_sel:DWORD dst_unused:UNUSED_PAD src0_sel:DWORD src1_sel:WORD_1
	v_mul_f16_sdwa v20, v2, v9 dst_sel:DWORD dst_unused:UNUSED_PAD src0_sel:DWORD src1_sel:WORD_1
	s_waitcnt vmcnt(3)
	v_mul_f16_sdwa v21, v15, v10 dst_sel:DWORD dst_unused:UNUSED_PAD src0_sel:DWORD src1_sel:WORD_1
	v_mul_f16_sdwa v22, v3, v10 dst_sel:DWORD dst_unused:UNUSED_PAD src0_sel:DWORD src1_sel:WORD_1
	s_waitcnt vmcnt(2)
	v_mul_f16_sdwa v23, v16, v11 dst_sel:DWORD dst_unused:UNUSED_PAD src0_sel:DWORD src1_sel:WORD_1
	v_fmac_f16_e32 v19, v2, v9
	v_fma_f16 v2, v9, v8, -v20
	v_fmac_f16_e32 v21, v3, v10
	v_mul_f16_sdwa v24, v4, v11 dst_sel:DWORD dst_unused:UNUSED_PAD src0_sel:DWORD src1_sel:WORD_1
	s_waitcnt vmcnt(1)
	v_mul_f16_sdwa v25, v17, v12 dst_sel:DWORD dst_unused:UNUSED_PAD src0_sel:DWORD src1_sel:WORD_1
	v_cvt_f32_f16_e32 v3, v19
	v_cvt_f32_f16_e32 v8, v2
	v_fma_f16 v10, v10, v15, -v22
	v_fmac_f16_e32 v23, v4, v11
	v_cvt_f32_f16_e32 v4, v21
	v_cvt_f64_f32_e32 v[2:3], v3
	v_cvt_f64_f32_e32 v[8:9], v8
	v_mul_f16_sdwa v26, v5, v12 dst_sel:DWORD dst_unused:UNUSED_PAD src0_sel:DWORD src1_sel:WORD_1
	s_waitcnt vmcnt(0)
	v_mul_f16_sdwa v20, v18, v13 dst_sel:DWORD dst_unused:UNUSED_PAD src0_sel:DWORD src1_sel:WORD_1
	v_mul_f16_sdwa v27, v14, v13 dst_sel:DWORD dst_unused:UNUSED_PAD src0_sel:DWORD src1_sel:WORD_1
	v_fma_f16 v11, v11, v16, -v24
	v_fmac_f16_e32 v25, v5, v12
	v_cvt_f32_f16_e32 v10, v10
	v_cvt_f64_f32_e32 v[4:5], v4
	v_fma_f16 v12, v12, v17, -v26
	v_fmac_f16_e32 v20, v14, v13
	v_fma_f16 v13, v13, v18, -v27
	v_cvt_f32_f16_e32 v14, v23
	v_cvt_f32_f16_e32 v15, v11
	v_cvt_f64_f32_e32 v[10:11], v10
	v_cvt_f32_f16_e32 v18, v12
	v_cvt_f32_f16_e32 v22, v13
	v_cvt_f64_f32_e32 v[12:13], v14
	v_cvt_f32_f16_e32 v16, v25
	v_cvt_f64_f32_e32 v[14:15], v15
	;; [unrolled: 2-line block ×3, first 2 shown]
	v_mul_f64 v[2:3], v[2:3], s[4:5]
	v_mul_f64 v[8:9], v[8:9], s[4:5]
	v_cvt_f64_f32_e32 v[16:17], v16
	v_add_co_u32 v24, vcc_lo, v6, s0
	v_add_co_ci_u32_e32 v25, vcc_lo, s1, v7, vcc_lo
	v_cvt_f64_f32_e32 v[20:21], v20
	v_mul_f64 v[4:5], v[4:5], s[4:5]
	v_add_co_u32 v26, vcc_lo, v24, s0
	v_add_co_ci_u32_e32 v27, vcc_lo, s1, v25, vcc_lo
	v_cvt_f64_f32_e32 v[22:23], v22
	v_mul_f64 v[10:11], v[10:11], s[4:5]
	v_add_co_u32 v28, vcc_lo, v26, s0
	v_mul_f64 v[12:13], v[12:13], s[4:5]
	v_add_co_ci_u32_e32 v29, vcc_lo, s1, v27, vcc_lo
	v_mul_f64 v[14:15], v[14:15], s[4:5]
	v_mul_f64 v[18:19], v[18:19], s[4:5]
	v_and_or_b32 v2, 0x1ff, v3, v2
	v_and_or_b32 v8, 0x1ff, v9, v8
	v_mul_f64 v[16:17], v[16:17], s[4:5]
	v_lshrrev_b32_e32 v30, 8, v3
	v_bfe_u32 v31, v3, 20, 11
	v_cmp_ne_u32_e32 vcc_lo, 0, v2
	v_lshrrev_b32_e32 v32, 8, v9
	v_mul_f64 v[20:21], v[20:21], s[4:5]
	v_and_or_b32 v4, 0x1ff, v5, v4
	v_bfe_u32 v33, v9, 20, 11
	v_cndmask_b32_e64 v2, 0, 1, vcc_lo
	v_cmp_ne_u32_e32 vcc_lo, 0, v8
	v_lshrrev_b32_e32 v34, 8, v5
	v_mul_f64 v[22:23], v[22:23], s[4:5]
	v_and_or_b32 v10, 0x1ff, v11, v10
	v_and_or_b32 v2, 0xffe, v30, v2
	v_cndmask_b32_e64 v8, 0, 1, vcc_lo
	v_cmp_ne_u32_e32 vcc_lo, 0, v4
	v_and_or_b32 v12, 0x1ff, v13, v12
	v_bfe_u32 v35, v5, 20, 11
	v_and_or_b32 v14, 0x1ff, v15, v14
	v_and_or_b32 v18, 0x1ff, v19, v18
	v_cndmask_b32_e64 v4, 0, 1, vcc_lo
	v_cmp_ne_u32_e32 vcc_lo, 0, v10
	v_and_or_b32 v16, 0x1ff, v17, v16
	v_bfe_u32 v37, v11, 20, 11
	v_sub_nc_u32_e32 v50, 0x3f1, v31
	v_add_nc_u32_e32 v31, 0xfffffc10, v31
	v_cndmask_b32_e64 v10, 0, 1, vcc_lo
	v_cmp_ne_u32_e32 vcc_lo, 0, v12
	v_and_or_b32 v20, 0x1ff, v21, v20
	v_sub_nc_u32_e32 v51, 0x3f1, v33
	v_and_or_b32 v8, 0xffe, v32, v8
	v_lshrrev_b32_e32 v36, 8, v11
	v_cndmask_b32_e64 v12, 0, 1, vcc_lo
	v_cmp_ne_u32_e32 vcc_lo, 0, v14
	v_and_or_b32 v22, 0x1ff, v23, v22
	v_bfe_u32 v39, v13, 20, 11
	v_bfe_u32 v41, v15, 20, 11
	v_add_nc_u32_e32 v33, 0xfffffc10, v33
	v_cndmask_b32_e64 v14, 0, 1, vcc_lo
	v_cmp_ne_u32_e32 vcc_lo, 0, v16
	v_sub_nc_u32_e32 v52, 0x3f1, v35
	v_sub_nc_u32_e32 v53, 0x3f1, v37
	v_med3_i32 v30, v50, 0, 13
	v_med3_i32 v32, v51, 0, 13
	v_cndmask_b32_e64 v16, 0, 1, vcc_lo
	v_cmp_ne_u32_e32 vcc_lo, 0, v18
	v_and_or_b32 v4, 0xffe, v34, v4
	v_or_b32_e32 v50, 0x1000, v2
	v_lshl_or_b32 v51, v31, 12, v2
	v_lshrrev_b32_e32 v38, 8, v13
	v_cndmask_b32_e64 v18, 0, 1, vcc_lo
	v_cmp_ne_u32_e32 vcc_lo, 0, v20
	v_lshrrev_b32_e32 v40, 8, v15
	v_bfe_u32 v43, v17, 20, 11
	v_bfe_u32 v45, v19, 20, 11
	v_add_nc_u32_e32 v35, 0xfffffc10, v35
	v_cndmask_b32_e64 v20, 0, 1, vcc_lo
	v_cmp_ne_u32_e32 vcc_lo, 0, v22
	v_sub_nc_u32_e32 v54, 0x3f1, v39
	v_sub_nc_u32_e32 v55, 0x3f1, v41
	v_med3_i32 v34, v52, 0, 13
	v_and_or_b32 v10, 0xffe, v36, v10
	v_cndmask_b32_e64 v22, 0, 1, vcc_lo
	v_cmp_ne_u32_e32 vcc_lo, 0, v2
	v_med3_i32 v36, v53, 0, 13
	v_or_b32_e32 v52, 0x1000, v8
	v_lshl_or_b32 v53, v33, 12, v8
	v_lshrrev_b32_e32 v42, 8, v17
	v_cndmask_b32_e64 v2, 0, 1, vcc_lo
	v_cmp_ne_u32_e32 vcc_lo, 0, v8
	v_lshrrev_b32_e32 v44, 8, v19
	v_bfe_u32 v47, v21, 20, 11
	v_bfe_u32 v49, v23, 20, 11
	v_add_nc_u32_e32 v37, 0xfffffc10, v37
	v_cndmask_b32_e64 v8, 0, 1, vcc_lo
	v_cmp_ne_u32_e32 vcc_lo, 0, v4
	v_sub_nc_u32_e32 v56, 0x3f1, v43
	v_sub_nc_u32_e32 v57, 0x3f1, v45
	v_and_or_b32 v12, 0xffe, v38, v12
	v_med3_i32 v38, v54, 0, 13
	v_and_or_b32 v14, 0xffe, v40, v14
	v_med3_i32 v40, v55, 0, 13
	v_or_b32_e32 v54, 0x1000, v4
	v_lshl_or_b32 v55, v35, 12, v4
	v_cndmask_b32_e64 v4, 0, 1, vcc_lo
	v_cmp_ne_u32_e32 vcc_lo, 0, v10
	v_lshrrev_b32_e32 v46, 8, v21
	v_lshrrev_b32_e32 v48, 8, v23
	v_add_nc_u32_e32 v39, 0xfffffc10, v39
	v_sub_nc_u32_e32 v58, 0x3f1, v47
	v_sub_nc_u32_e32 v59, 0x3f1, v49
	v_and_or_b32 v16, 0xffe, v42, v16
	v_med3_i32 v42, v56, 0, 13
	v_and_or_b32 v18, 0xffe, v44, v18
	v_med3_i32 v44, v57, 0, 13
	v_or_b32_e32 v56, 0x1000, v10
	v_lshl_or_b32 v57, v37, 12, v10
	v_cndmask_b32_e64 v10, 0, 1, vcc_lo
	v_cmp_ne_u32_e32 vcc_lo, 0, v12
	v_add_nc_u32_e32 v41, 0xfffffc10, v41
	v_and_or_b32 v20, 0xffe, v46, v20
	v_med3_i32 v46, v58, 0, 13
	v_and_or_b32 v22, 0xffe, v48, v22
	v_med3_i32 v48, v59, 0, 13
	v_or_b32_e32 v58, 0x1000, v12
	v_lshl_or_b32 v59, v39, 12, v12
	v_cndmask_b32_e64 v12, 0, 1, vcc_lo
	v_cmp_ne_u32_e32 vcc_lo, 0, v14
	v_add_nc_u32_e32 v43, 0xfffffc10, v43
	v_or_b32_e32 v60, 0x1000, v14
	v_lshl_or_b32 v61, v41, 12, v14
	v_add_nc_u32_e32 v45, 0xfffffc10, v45
	v_cndmask_b32_e64 v14, 0, 1, vcc_lo
	v_cmp_ne_u32_e32 vcc_lo, 0, v16
	v_or_b32_e32 v62, 0x1000, v16
	v_lshl_or_b32 v63, v43, 12, v16
	v_add_nc_u32_e32 v47, 0xfffffc10, v47
	v_or_b32_e32 v64, 0x1000, v18
	v_cndmask_b32_e64 v16, 0, 1, vcc_lo
	v_cmp_ne_u32_e32 vcc_lo, 0, v18
	v_lshl_or_b32 v65, v45, 12, v18
	v_lshrrev_b32_e32 v71, v32, v52
	v_add_nc_u32_e32 v49, 0xfffffc10, v49
	v_or_b32_e32 v66, 0x1000, v20
	v_cndmask_b32_e64 v18, 0, 1, vcc_lo
	v_cmp_ne_u32_e32 vcc_lo, 0, v20
	v_lshl_or_b32 v67, v47, 12, v20
	v_lshrrev_b32_e32 v70, v30, v50
	v_lshrrev_b32_e32 v72, v34, v54
	v_lshlrev_b32_e32 v32, v32, v71
	v_cndmask_b32_e64 v20, 0, 1, vcc_lo
	v_cmp_ne_u32_e32 vcc_lo, 0, v22
	v_or_b32_e32 v68, 0x1000, v22
	v_lshl_or_b32 v69, v49, 12, v22
	v_lshrrev_b32_e32 v74, v38, v58
	v_lshlrev_b32_e32 v30, v30, v70
	v_cndmask_b32_e64 v22, 0, 1, vcc_lo
	v_cmp_ne_u32_e32 vcc_lo, v32, v52
	v_lshlrev_b32_e32 v34, v34, v72
	v_lshrrev_b32_e32 v75, v40, v60
	v_lshlrev_b32_e32 v38, v38, v74
	v_cmp_ne_u32_e64 s1, v30, v50
	v_cndmask_b32_e64 v50, 0, 1, vcc_lo
	v_cmp_ne_u32_e32 vcc_lo, v34, v54
	v_lshrrev_b32_e32 v73, v36, v56
	v_lshrrev_b32_e32 v32, v42, v62
	v_lshlrev_b32_e32 v40, v40, v75
	v_lshrrev_b32_e32 v52, v44, v64
	v_cndmask_b32_e64 v34, 0, 1, vcc_lo
	v_cmp_ne_u32_e32 vcc_lo, v38, v58
	v_lshlrev_b32_e32 v36, v36, v73
	v_lshlrev_b32_e32 v42, v42, v32
	;; [unrolled: 1-line block ×3, first 2 shown]
	v_cndmask_b32_e64 v30, 0, 1, s1
	v_cndmask_b32_e64 v38, 0, 1, vcc_lo
	v_cmp_ne_u32_e32 vcc_lo, v40, v60
	v_cmp_ne_u32_e64 s0, v36, v56
	v_lshrrev_b32_e32 v36, v46, v66
	v_lshrrev_b32_e32 v56, v48, v68
	v_or_b32_e32 v30, v70, v30
	v_cndmask_b32_e64 v40, 0, 1, vcc_lo
	v_cmp_ne_u32_e32 vcc_lo, v42, v62
	v_lshlrev_b32_e32 v46, v46, v36
	v_lshlrev_b32_e32 v48, v48, v56
	v_or_b32_e32 v50, v71, v50
	v_cndmask_b32_e64 v54, 0, 1, s0
	v_cndmask_b32_e64 v42, 0, 1, vcc_lo
	v_cmp_ne_u32_e32 vcc_lo, v44, v64
	v_or_b32_e32 v34, v72, v34
	v_or_b32_e32 v38, v74, v38
	;; [unrolled: 1-line block ×4, first 2 shown]
	v_cndmask_b32_e64 v44, 0, 1, vcc_lo
	v_cmp_ne_u32_e32 vcc_lo, v46, v66
	v_or_b32_e32 v40, v75, v40
	v_lshl_or_b32 v2, v2, 9, 0x7c00
	v_lshl_or_b32 v8, v8, 9, 0x7c00
	v_or_b32_e32 v42, v52, v44
	v_cndmask_b32_e64 v46, 0, 1, vcc_lo
	v_cmp_ne_u32_e32 vcc_lo, v48, v68
	v_lshl_or_b32 v4, v4, 9, 0x7c00
	v_lshl_or_b32 v10, v10, 9, 0x7c00
	;; [unrolled: 1-line block ×3, first 2 shown]
	v_or_b32_e32 v36, v36, v46
	v_cndmask_b32_e64 v48, 0, 1, vcc_lo
	v_cmp_gt_i32_e32 vcc_lo, 1, v31
	v_lshl_or_b32 v14, v14, 9, 0x7c00
	v_lshl_or_b32 v16, v16, 9, 0x7c00
	;; [unrolled: 1-line block ×3, first 2 shown]
	v_or_b32_e32 v44, v56, v48
	v_cndmask_b32_e32 v30, v51, v30, vcc_lo
	v_cmp_gt_i32_e32 vcc_lo, 1, v33
	v_lshl_or_b32 v20, v20, 9, 0x7c00
	v_lshrrev_b32_e32 v3, 16, v3
	v_lshrrev_b32_e32 v5, 16, v5
	;; [unrolled: 1-line block ×3, first 2 shown]
	v_cndmask_b32_e32 v46, v53, v50, vcc_lo
	v_cmp_gt_i32_e32 vcc_lo, 1, v35
	v_and_b32_e32 v50, 7, v30
	v_lshrrev_b32_e32 v30, 2, v30
	v_lshrrev_b32_e32 v13, 16, v13
	v_and_b32_e32 v51, 7, v46
	v_cndmask_b32_e32 v34, v55, v34, vcc_lo
	v_cmp_gt_i32_e32 vcc_lo, 1, v37
	v_cmp_eq_u32_e64 s0, 3, v50
	v_lshrrev_b32_e32 v46, 2, v46
	v_cmp_lt_i32_e64 s1, 5, v51
	v_and_b32_e32 v52, 7, v34
	v_cndmask_b32_e32 v48, v57, v54, vcc_lo
	v_cmp_gt_i32_e32 vcc_lo, 1, v39
	v_cmp_eq_u32_e64 s2, 3, v51
	v_lshrrev_b32_e32 v34, 2, v34
	v_cmp_lt_i32_e64 s3, 5, v52
	v_and_b32_e32 v53, 7, v48
	v_cndmask_b32_e32 v38, v59, v38, vcc_lo
	v_cmp_gt_i32_e32 vcc_lo, 1, v41
	v_cmp_eq_u32_e64 s4, 3, v52
	v_lshrrev_b32_e32 v48, 2, v48
	v_cmp_lt_i32_e64 s5, 5, v53
	v_and_b32_e32 v54, 7, v38
	v_cndmask_b32_e32 v40, v61, v40, vcc_lo
	v_cmp_gt_i32_e32 vcc_lo, 1, v43
	v_cmp_eq_u32_e64 s6, 3, v53
	v_lshrrev_b32_e32 v38, 2, v38
	v_cmp_lt_i32_e64 s7, 5, v54
	v_and_b32_e32 v55, 7, v40
	v_cndmask_b32_e32 v32, v63, v32, vcc_lo
	v_cmp_gt_i32_e32 vcc_lo, 1, v45
	v_cmp_eq_u32_e64 s8, 3, v54
	v_lshrrev_b32_e32 v40, 2, v40
	v_cmp_lt_i32_e64 s9, 5, v55
	v_and_b32_e32 v56, 7, v32
	v_cndmask_b32_e32 v42, v65, v42, vcc_lo
	v_cmp_gt_i32_e32 vcc_lo, 1, v47
	v_cmp_eq_u32_e64 s10, 3, v55
	v_lshrrev_b32_e32 v32, 2, v32
	v_cmp_lt_i32_e64 s11, 5, v56
	v_and_b32_e32 v57, 7, v42
	v_cndmask_b32_e32 v36, v67, v36, vcc_lo
	v_cmp_gt_i32_e32 vcc_lo, 1, v49
	v_cmp_eq_u32_e64 s12, 3, v56
	v_lshrrev_b32_e32 v42, 2, v42
	v_cmp_lt_i32_e64 s13, 5, v57
	v_and_b32_e32 v58, 7, v36
	v_cndmask_b32_e32 v44, v69, v44, vcc_lo
	v_cmp_lt_i32_e32 vcc_lo, 5, v50
	v_cmp_eq_u32_e64 s14, 3, v57
	v_lshrrev_b32_e32 v36, 2, v36
	v_cmp_lt_i32_e64 s15, 5, v58
	v_and_b32_e32 v59, 7, v44
	s_or_b32 vcc_lo, s0, vcc_lo
	v_cmp_eq_u32_e64 s16, 3, v58
	v_add_co_ci_u32_e32 v30, vcc_lo, 0, v30, vcc_lo
	s_or_b32 vcc_lo, s2, s1
	v_cmp_lt_i32_e64 s17, 5, v59
	v_add_co_ci_u32_e32 v46, vcc_lo, 0, v46, vcc_lo
	s_or_b32 vcc_lo, s4, s3
	v_cmp_eq_u32_e64 s18, 3, v59
	v_add_co_ci_u32_e32 v34, vcc_lo, 0, v34, vcc_lo
	s_or_b32 vcc_lo, s6, s5
	v_lshrrev_b32_e32 v44, 2, v44
	v_add_co_ci_u32_e32 v48, vcc_lo, 0, v48, vcc_lo
	s_or_b32 vcc_lo, s8, s7
	v_lshrrev_b32_e32 v11, 16, v11
	;; [unrolled: 3-line block ×4, first 2 shown]
	v_add_co_ci_u32_e32 v32, vcc_lo, 0, v32, vcc_lo
	s_or_b32 vcc_lo, s14, s13
	v_lshl_or_b32 v22, v22, 9, 0x7c00
	v_add_co_ci_u32_e32 v42, vcc_lo, 0, v42, vcc_lo
	s_or_b32 vcc_lo, s16, s15
	v_lshrrev_b32_e32 v15, 16, v15
	v_add_co_ci_u32_e32 v36, vcc_lo, 0, v36, vcc_lo
	s_or_b32 vcc_lo, s18, s17
	v_lshrrev_b32_e32 v19, 16, v19
	v_add_co_ci_u32_e32 v44, vcc_lo, 0, v44, vcc_lo
	v_cmp_gt_i32_e32 vcc_lo, 31, v31
	v_lshrrev_b32_e32 v23, 16, v23
	v_cndmask_b32_e32 v30, 0x7c00, v30, vcc_lo
	v_cmp_gt_i32_e32 vcc_lo, 31, v33
	v_cndmask_b32_e32 v46, 0x7c00, v46, vcc_lo
	v_cmp_gt_i32_e32 vcc_lo, 31, v35
	;; [unrolled: 2-line block ×9, first 2 shown]
	v_cndmask_b32_e32 v44, 0x7c00, v44, vcc_lo
	v_cmp_eq_u32_e32 vcc_lo, 0x40f, v31
	v_cndmask_b32_e32 v2, v30, v2, vcc_lo
	v_cmp_eq_u32_e32 vcc_lo, 0x40f, v33
	v_and_or_b32 v2, 0x8000, v3, v2
	v_cndmask_b32_e32 v8, v46, v8, vcc_lo
	v_cmp_eq_u32_e32 vcc_lo, 0x40f, v35
	v_and_b32_e32 v2, 0xffff, v2
	v_and_or_b32 v3, 0x8000, v9, v8
	v_cndmask_b32_e32 v4, v34, v4, vcc_lo
	v_cmp_eq_u32_e32 vcc_lo, 0x40f, v37
	v_lshl_or_b32 v2, v3, 16, v2
	v_and_or_b32 v4, 0x8000, v5, v4
	v_cndmask_b32_e32 v10, v48, v10, vcc_lo
	v_cmp_eq_u32_e32 vcc_lo, 0x40f, v39
	v_and_b32_e32 v4, 0xffff, v4
	v_and_or_b32 v5, 0x8000, v11, v10
	v_cndmask_b32_e32 v12, v38, v12, vcc_lo
	v_cmp_eq_u32_e32 vcc_lo, 0x40f, v41
	v_lshl_or_b32 v3, v5, 16, v4
	;; [unrolled: 8-line block ×4, first 2 shown]
	v_and_or_b32 v12, 0x8000, v21, v20
	v_cndmask_b32_e32 v22, v44, v22, vcc_lo
	v_and_b32_e32 v12, 0xffff, v12
	v_and_or_b32 v13, 0x8000, v23, v22
	v_lshl_or_b32 v8, v13, 16, v12
	global_store_dword v[0:1], v2, off
	global_store_dword v[6:7], v3, off
	global_store_dword v[24:25], v4, off
	global_store_dword v[26:27], v5, off
	global_store_dword v[28:29], v8, off
.LBB0_15:
	s_endpgm
	.section	.rodata,"a",@progbits
	.p2align	6, 0x0
	.amdhsa_kernel bluestein_single_back_len80_dim1_half_op_CI_CI
		.amdhsa_group_segment_fixed_size 1920
		.amdhsa_private_segment_fixed_size 0
		.amdhsa_kernarg_size 104
		.amdhsa_user_sgpr_count 6
		.amdhsa_user_sgpr_private_segment_buffer 1
		.amdhsa_user_sgpr_dispatch_ptr 0
		.amdhsa_user_sgpr_queue_ptr 0
		.amdhsa_user_sgpr_kernarg_segment_ptr 1
		.amdhsa_user_sgpr_dispatch_id 0
		.amdhsa_user_sgpr_flat_scratch_init 0
		.amdhsa_user_sgpr_private_segment_size 0
		.amdhsa_wavefront_size32 1
		.amdhsa_uses_dynamic_stack 0
		.amdhsa_system_sgpr_private_segment_wavefront_offset 0
		.amdhsa_system_sgpr_workgroup_id_x 1
		.amdhsa_system_sgpr_workgroup_id_y 0
		.amdhsa_system_sgpr_workgroup_id_z 0
		.amdhsa_system_sgpr_workgroup_info 0
		.amdhsa_system_vgpr_workitem_id 0
		.amdhsa_next_free_vgpr 76
		.amdhsa_next_free_sgpr 19
		.amdhsa_reserve_vcc 1
		.amdhsa_reserve_flat_scratch 0
		.amdhsa_float_round_mode_32 0
		.amdhsa_float_round_mode_16_64 0
		.amdhsa_float_denorm_mode_32 3
		.amdhsa_float_denorm_mode_16_64 3
		.amdhsa_dx10_clamp 1
		.amdhsa_ieee_mode 1
		.amdhsa_fp16_overflow 0
		.amdhsa_workgroup_processor_mode 1
		.amdhsa_memory_ordered 1
		.amdhsa_forward_progress 0
		.amdhsa_shared_vgpr_count 0
		.amdhsa_exception_fp_ieee_invalid_op 0
		.amdhsa_exception_fp_denorm_src 0
		.amdhsa_exception_fp_ieee_div_zero 0
		.amdhsa_exception_fp_ieee_overflow 0
		.amdhsa_exception_fp_ieee_underflow 0
		.amdhsa_exception_fp_ieee_inexact 0
		.amdhsa_exception_int_div_zero 0
	.end_amdhsa_kernel
	.text
.Lfunc_end0:
	.size	bluestein_single_back_len80_dim1_half_op_CI_CI, .Lfunc_end0-bluestein_single_back_len80_dim1_half_op_CI_CI
                                        ; -- End function
	.section	.AMDGPU.csdata,"",@progbits
; Kernel info:
; codeLenInByte = 12708
; NumSgprs: 21
; NumVgprs: 76
; ScratchSize: 0
; MemoryBound: 0
; FloatMode: 240
; IeeeMode: 1
; LDSByteSize: 1920 bytes/workgroup (compile time only)
; SGPRBlocks: 2
; VGPRBlocks: 9
; NumSGPRsForWavesPerEU: 21
; NumVGPRsForWavesPerEU: 76
; Occupancy: 12
; WaveLimiterHint : 1
; COMPUTE_PGM_RSRC2:SCRATCH_EN: 0
; COMPUTE_PGM_RSRC2:USER_SGPR: 6
; COMPUTE_PGM_RSRC2:TRAP_HANDLER: 0
; COMPUTE_PGM_RSRC2:TGID_X_EN: 1
; COMPUTE_PGM_RSRC2:TGID_Y_EN: 0
; COMPUTE_PGM_RSRC2:TGID_Z_EN: 0
; COMPUTE_PGM_RSRC2:TIDIG_COMP_CNT: 0
	.text
	.p2alignl 6, 3214868480
	.fill 48, 4, 3214868480
	.type	__hip_cuid_2b611ddbe426454e,@object ; @__hip_cuid_2b611ddbe426454e
	.section	.bss,"aw",@nobits
	.globl	__hip_cuid_2b611ddbe426454e
__hip_cuid_2b611ddbe426454e:
	.byte	0                               ; 0x0
	.size	__hip_cuid_2b611ddbe426454e, 1

	.ident	"AMD clang version 19.0.0git (https://github.com/RadeonOpenCompute/llvm-project roc-6.4.0 25133 c7fe45cf4b819c5991fe208aaa96edf142730f1d)"
	.section	".note.GNU-stack","",@progbits
	.addrsig
	.addrsig_sym __hip_cuid_2b611ddbe426454e
	.amdgpu_metadata
---
amdhsa.kernels:
  - .args:
      - .actual_access:  read_only
        .address_space:  global
        .offset:         0
        .size:           8
        .value_kind:     global_buffer
      - .actual_access:  read_only
        .address_space:  global
        .offset:         8
        .size:           8
        .value_kind:     global_buffer
      - .actual_access:  read_only
        .address_space:  global
        .offset:         16
        .size:           8
        .value_kind:     global_buffer
      - .actual_access:  read_only
        .address_space:  global
        .offset:         24
        .size:           8
        .value_kind:     global_buffer
      - .actual_access:  read_only
        .address_space:  global
        .offset:         32
        .size:           8
        .value_kind:     global_buffer
      - .offset:         40
        .size:           8
        .value_kind:     by_value
      - .address_space:  global
        .offset:         48
        .size:           8
        .value_kind:     global_buffer
      - .address_space:  global
        .offset:         56
        .size:           8
        .value_kind:     global_buffer
      - .address_space:  global
        .offset:         64
        .size:           8
        .value_kind:     global_buffer
      - .address_space:  global
        .offset:         72
        .size:           8
        .value_kind:     global_buffer
      - .offset:         80
        .size:           4
        .value_kind:     by_value
      - .address_space:  global
        .offset:         88
        .size:           8
        .value_kind:     global_buffer
      - .address_space:  global
        .offset:         96
        .size:           8
        .value_kind:     global_buffer
    .group_segment_fixed_size: 1920
    .kernarg_segment_align: 8
    .kernarg_segment_size: 104
    .language:       OpenCL C
    .language_version:
      - 2
      - 0
    .max_flat_workgroup_size: 60
    .name:           bluestein_single_back_len80_dim1_half_op_CI_CI
    .private_segment_fixed_size: 0
    .sgpr_count:     21
    .sgpr_spill_count: 0
    .symbol:         bluestein_single_back_len80_dim1_half_op_CI_CI.kd
    .uniform_work_group_size: 1
    .uses_dynamic_stack: false
    .vgpr_count:     76
    .vgpr_spill_count: 0
    .wavefront_size: 32
    .workgroup_processor_mode: 1
amdhsa.target:   amdgcn-amd-amdhsa--gfx1030
amdhsa.version:
  - 1
  - 2
...

	.end_amdgpu_metadata
